;; amdgpu-corpus repo=ROCm/rocFFT kind=compiled arch=gfx950 opt=O3
	.text
	.amdgcn_target "amdgcn-amd-amdhsa--gfx950"
	.amdhsa_code_object_version 6
	.protected	bluestein_single_fwd_len1920_dim1_sp_op_CI_CI ; -- Begin function bluestein_single_fwd_len1920_dim1_sp_op_CI_CI
	.globl	bluestein_single_fwd_len1920_dim1_sp_op_CI_CI
	.p2align	8
	.type	bluestein_single_fwd_len1920_dim1_sp_op_CI_CI,@function
bluestein_single_fwd_len1920_dim1_sp_op_CI_CI: ; @bluestein_single_fwd_len1920_dim1_sp_op_CI_CI
; %bb.0:
	s_load_dwordx4 s[8:11], s[0:1], 0x28
	v_mul_u32_u24_e32 v1, 0x223, v0
	v_lshrrev_b32_e32 v8, 16, v1
	v_mov_b32_e32 v91, 0
	v_lshl_add_u32 v112, s2, 1, v8
	v_mov_b32_e32 v113, v91
	s_waitcnt lgkmcnt(0)
	v_cmp_gt_u64_e32 vcc, s[8:9], v[112:113]
	s_and_saveexec_b64 s[2:3], vcc
	s_cbranch_execz .LBB0_23
; %bb.1:
	s_load_dwordx4 s[4:7], s[0:1], 0x18
	s_load_dwordx2 s[16:17], s[0:1], 0x0
	v_mul_lo_u16_e32 v1, 0x78, v8
	v_sub_u16_e32 v90, v0, v1
	v_mov_b32_e32 v2, s10
	s_waitcnt lgkmcnt(0)
	s_load_dwordx4 s[12:15], s[4:5], 0x0
	v_mov_b32_e32 v3, s11
	v_or_b32_e32 v113, 0x180, v90
	v_mov_b32_e32 v9, 0xc00
	v_lshlrev_b32_e32 v10, 3, v90
	s_waitcnt lgkmcnt(0)
	v_mad_u64_u32 v[0:1], s[2:3], s14, v112, 0
	v_mov_b32_e32 v4, v1
	v_mad_u64_u32 v[4:5], s[2:3], s15, v112, v[4:5]
	v_mov_b32_e32 v1, v4
	;; [unrolled: 2-line block ×4, first 2 shown]
	v_lshl_add_u64 v[6:7], v[0:1], 3, v[2:3]
	v_lshl_add_u64 v[0:1], v[4:5], 3, v[6:7]
	v_mad_u64_u32 v[4:5], s[4:5], s12, v113, 0
	s_mul_i32 s2, s13, 0xc0
	s_mul_hi_u32 s3, s12, 0xc0
	v_mov_b32_e32 v12, v5
	s_add_i32 s3, s3, s2
	s_mul_i32 s2, s12, 0xc0
	v_mad_u64_u32 v[12:13], s[4:5], s13, v113, v[12:13]
	v_lshl_add_u64 v[2:3], s[2:3], 3, v[0:1]
	v_mov_b32_e32 v5, v12
	v_mov_b32_e32 v11, v91
	v_lshl_add_u64 v[4:5], v[4:5], 3, v[6:7]
	global_load_dwordx2 v[12:13], v[0:1], off
	global_load_dwordx2 v[14:15], v[2:3], off
	;; [unrolled: 1-line block ×3, first 2 shown]
	global_load_dwordx2 v[108:109], v10, s[16:17]
	global_load_dwordx2 v[98:99], v10, s[16:17] offset:1536
	global_load_dwordx2 v[92:93], v10, s[16:17] offset:3072
	v_mad_u64_u32 v[2:3], s[4:5], s12, v9, v[2:3]
	v_lshl_add_u64 v[88:89], s[16:17], 0, v[10:11]
	s_movk_i32 s4, 0x1000
	v_or_b32_e32 v204, 0x300, v90
	v_add_co_u32_e32 v0, vcc, s4, v88
	v_mad_u64_u32 v[4:5], s[4:5], s12, v204, 0
	v_mov_b32_e32 v18, v5
	v_mad_u64_u32 v[18:19], s[4:5], s13, v204, v[18:19]
	s_mul_i32 s8, s13, 0xc00
	v_mov_b32_e32 v5, v18
	v_or_b32_e32 v205, 0x480, v90
	v_add_u32_e32 v3, s8, v3
	v_lshl_add_u64 v[4:5], v[4:5], 3, v[6:7]
	v_mad_u64_u32 v[20:21], s[4:5], s12, v205, 0
	global_load_dwordx2 v[18:19], v[4:5], off
	v_mad_u64_u32 v[4:5], s[4:5], s12, v9, v[2:3]
	v_mov_b32_e32 v22, v21
	v_add_u32_e32 v5, s8, v5
	v_mad_u64_u32 v[22:23], s[4:5], s13, v205, v[22:23]
	v_mov_b32_e32 v21, v22
	v_mad_u64_u32 v[22:23], s[4:5], s12, v9, v[4:5]
	v_addc_co_u32_e32 v1, vcc, 0, v89, vcc
	v_lshlrev_b32_e32 v80, 3, v204
	v_lshl_add_u64 v[20:21], v[20:21], 3, v[6:7]
	s_movk_i32 s4, 0x2000
	v_or_b32_e32 v206, 0x600, v90
	global_load_dwordx2 v[96:97], v80, s[16:17]
	global_load_dwordx2 v[110:111], v[0:1], off offset:512
	global_load_dwordx2 v[94:95], v[0:1], off offset:3584
	v_add_u32_e32 v23, s8, v23
	global_load_dwordx2 v[20:21], v[20:21], off
	s_nop 0
	global_load_dwordx2 v[24:25], v[2:3], off
	global_load_dwordx2 v[26:27], v[4:5], off
	global_load_dwordx2 v[28:29], v[22:23], off
	v_add_co_u32_e32 v2, vcc, s4, v88
	v_mad_u64_u32 v[4:5], s[4:5], s12, v206, 0
	v_mov_b32_e32 v30, v5
	v_mad_u64_u32 v[30:31], s[4:5], s13, v206, v[30:31]
	v_mov_b32_e32 v5, v30
	v_lshlrev_b32_e32 v81, 3, v205
	v_lshl_add_u64 v[4:5], v[4:5], 3, v[6:7]
	v_mad_u64_u32 v[6:7], s[4:5], s12, v9, v[22:23]
	v_addc_co_u32_e32 v3, vcc, 0, v89, vcc
	global_load_dwordx2 v[106:107], v81, s[16:17]
	global_load_dwordx2 v[100:101], v[2:3], off offset:2560
	v_lshlrev_b32_e32 v82, 3, v206
	s_movk_i32 s4, 0x3000
	global_load_dwordx2 v[30:31], v[4:5], off
	global_load_dwordx2 v[102:103], v82, s[16:17]
	v_add_co_u32_e32 v4, vcc, s4, v88
	v_add_u32_e32 v7, s8, v7
	s_nop 0
	v_addc_co_u32_e32 v5, vcc, 0, v89, vcc
	global_load_dwordx2 v[22:23], v[6:7], off
	global_load_dwordx2 v[104:105], v[4:5], off offset:1536
	v_and_b32_e32 v8, 1, v8
	v_mov_b32_e32 v9, 0x780
	v_cmp_eq_u32_e32 vcc, 1, v8
	s_load_dwordx2 s[14:15], s[0:1], 0x38
	s_load_dwordx4 s[8:11], s[6:7], 0x0
	v_cndmask_b32_e32 v209, 0, v9, vcc
	v_or_b32_e32 v9, v209, v90
	v_lshlrev_b32_e32 v208, 3, v9
	v_lshl_add_u32 v207, v209, 3, v10
	s_movk_i32 s4, 0x48
	v_cmp_gt_u16_e64 s[4:5], s4, v90
	s_waitcnt vmcnt(16)
	v_mul_f32_e32 v8, v13, v109
	v_mul_f32_e32 v9, v12, v109
	v_fmac_f32_e32 v8, v12, v108
	v_fma_f32 v9, v13, v108, -v9
	ds_write_b64 v208, v[8:9]
	s_waitcnt vmcnt(15)
	v_mul_f32_e32 v8, v15, v99
	v_mul_f32_e32 v9, v14, v99
	s_waitcnt vmcnt(14)
	v_mul_f32_e32 v10, v17, v93
	v_mul_f32_e32 v11, v16, v93
	v_fmac_f32_e32 v8, v14, v98
	v_fma_f32 v9, v15, v98, -v9
	v_fmac_f32_e32 v10, v16, v92
	v_fma_f32 v11, v17, v92, -v11
	ds_write2st64_b64 v207, v[8:9], v[10:11] offset0:3 offset1:6
	s_waitcnt vmcnt(12)
	v_mul_f32_e32 v10, v19, v97
	v_mul_f32_e32 v11, v18, v97
	s_waitcnt vmcnt(8)
	v_mul_f32_e32 v8, v25, v111
	v_mul_f32_e32 v9, v24, v111
	v_fmac_f32_e32 v8, v24, v110
	v_fma_f32 v9, v25, v110, -v9
	v_fmac_f32_e32 v10, v18, v96
	v_fma_f32 v11, v19, v96, -v11
	ds_write2st64_b64 v207, v[8:9], v[10:11] offset0:9 offset1:12
	s_waitcnt vmcnt(7)
	v_mul_f32_e32 v8, v27, v95
	v_mul_f32_e32 v9, v26, v95
	v_fmac_f32_e32 v8, v26, v94
	v_fma_f32 v9, v27, v94, -v9
	s_waitcnt vmcnt(5)
	v_mul_f32_e32 v10, v21, v107
	v_mul_f32_e32 v11, v20, v107
	v_fmac_f32_e32 v10, v20, v106
	v_fma_f32 v11, v21, v106, -v11
	ds_write2st64_b64 v207, v[8:9], v[10:11] offset0:15 offset1:18
	s_waitcnt vmcnt(4)
	v_mul_f32_e32 v8, v29, v101
	v_mul_f32_e32 v9, v28, v101
	s_waitcnt vmcnt(2)
	v_mul_f32_e32 v10, v31, v103
	v_mul_f32_e32 v11, v30, v103
	v_fmac_f32_e32 v8, v28, v100
	v_fma_f32 v9, v29, v100, -v9
	v_fmac_f32_e32 v10, v30, v102
	v_fma_f32 v11, v31, v102, -v11
	ds_write2st64_b64 v207, v[8:9], v[10:11] offset0:21 offset1:24
	s_waitcnt vmcnt(0)
	v_mul_f32_e32 v8, v23, v105
	v_mul_f32_e32 v9, v22, v105
	v_fmac_f32_e32 v8, v22, v104
	v_fma_f32 v9, v23, v104, -v9
	ds_write_b64 v207, v[8:9] offset:13824
	s_and_saveexec_b64 s[6:7], s[4:5]
	s_cbranch_execz .LBB0_3
; %bb.2:
	v_mov_b32_e32 v8, 0xffffcdc0
	s_mulk_i32 s13, 0xcdc0
	v_mad_u64_u32 v[6:7], s[18:19], s12, v8, v[6:7]
	s_sub_i32 s12, s13, s12
	v_add_u32_e32 v7, s12, v7
	s_lshl_b64 s[2:3], s[2:3], 3
	global_load_dwordx2 v[8:9], v[6:7], off
	global_load_dwordx2 v[10:11], v[88:89], off offset:960
	v_lshl_add_u64 v[6:7], v[6:7], 0, s[2:3]
	global_load_dwordx2 v[12:13], v[6:7], off
	global_load_dwordx2 v[14:15], v[88:89], off offset:2496
	v_lshl_add_u64 v[6:7], v[6:7], 0, s[2:3]
	;; [unrolled: 3-line block ×3, first 2 shown]
	global_load_dwordx2 v[20:21], v[0:1], off offset:1472
	global_load_dwordx2 v[22:23], v[6:7], off
	v_lshl_add_u64 v[6:7], v[6:7], 0, s[2:3]
	global_load_dwordx2 v[24:25], v[6:7], off
	global_load_dwordx2 v[26:27], v[0:1], off offset:3008
	v_lshl_add_u64 v[0:1], v[6:7], 0, s[2:3]
	global_load_dwordx2 v[6:7], v[0:1], off
	global_load_dwordx2 v[28:29], v[2:3], off offset:448
	;; [unrolled: 3-line block ×3, first 2 shown]
	global_load_dwordx2 v[34:35], v[2:3], off offset:3520
	v_lshl_add_u64 v[0:1], v[0:1], 0, s[2:3]
	global_load_dwordx2 v[2:3], v[0:1], off
	v_lshl_add_u64 v[0:1], v[0:1], 0, s[2:3]
	global_load_dwordx2 v[36:37], v[0:1], off
	global_load_dwordx2 v[38:39], v[4:5], off offset:960
	global_load_dwordx2 v[40:41], v[4:5], off offset:2496
	v_lshl_add_u64 v[0:1], v[0:1], 0, s[2:3]
	global_load_dwordx2 v[0:1], v[0:1], off
	v_add_u32_e32 v42, 0x1c0, v207
	s_waitcnt vmcnt(18)
	v_mul_f32_e32 v4, v9, v11
	v_mul_f32_e32 v5, v8, v11
	v_fmac_f32_e32 v4, v8, v10
	v_fma_f32 v5, v9, v10, -v5
	s_waitcnt vmcnt(16)
	v_mul_f32_e32 v8, v13, v15
	v_mul_f32_e32 v9, v12, v15
	v_fmac_f32_e32 v8, v12, v14
	v_fma_f32 v9, v13, v14, -v9
	s_waitcnt vmcnt(14)
	v_mul_f32_e32 v10, v17, v19
	v_mul_f32_e32 v11, v16, v19
	ds_write2st64_b64 v42, v[4:5], v[8:9] offset0:1 offset1:4
	s_waitcnt vmcnt(12)
	v_mul_f32_e32 v4, v23, v21
	v_mul_f32_e32 v5, v22, v21
	v_fmac_f32_e32 v10, v16, v18
	v_fma_f32 v11, v17, v18, -v11
	v_fmac_f32_e32 v4, v22, v20
	v_fma_f32 v5, v23, v20, -v5
	s_waitcnt vmcnt(10)
	v_mul_f32_e32 v8, v25, v27
	v_mul_f32_e32 v9, v24, v27
	ds_write2st64_b64 v42, v[10:11], v[4:5] offset0:7 offset1:10
	s_waitcnt vmcnt(8)
	v_mul_f32_e32 v4, v7, v29
	v_mul_f32_e32 v5, v6, v29
	v_fmac_f32_e32 v8, v24, v26
	v_fma_f32 v9, v25, v26, -v9
	v_fmac_f32_e32 v4, v6, v28
	v_fma_f32 v5, v7, v28, -v5
	s_waitcnt vmcnt(6)
	v_mul_f32_e32 v6, v31, v33
	v_mul_f32_e32 v7, v30, v33
	ds_write2st64_b64 v42, v[8:9], v[4:5] offset0:13 offset1:16
	s_waitcnt vmcnt(4)
	v_mul_f32_e32 v4, v3, v35
	v_mul_f32_e32 v5, v2, v35
	v_fmac_f32_e32 v6, v30, v32
	v_fma_f32 v7, v31, v32, -v7
	v_fmac_f32_e32 v4, v2, v34
	v_fma_f32 v5, v3, v34, -v5
	s_waitcnt vmcnt(2)
	v_mul_f32_e32 v2, v37, v39
	v_mul_f32_e32 v3, v36, v39
	ds_write2st64_b64 v42, v[6:7], v[4:5] offset0:19 offset1:22
	s_waitcnt vmcnt(0)
	v_mul_f32_e32 v4, v1, v41
	v_mul_f32_e32 v5, v0, v41
	v_fmac_f32_e32 v2, v36, v38
	v_fma_f32 v3, v37, v38, -v3
	v_fmac_f32_e32 v4, v0, v40
	v_fma_f32 v5, v1, v40, -v5
	ds_write2st64_b64 v42, v[2:3], v[4:5] offset0:25 offset1:28
.LBB0_3:
	s_or_b64 exec, exec, s[6:7]
	s_waitcnt lgkmcnt(0)
	s_barrier
	ds_read2st64_b64 v[0:3], v207 offset0:3 offset1:6
	ds_read2st64_b64 v[4:7], v207 offset0:9 offset1:12
	;; [unrolled: 1-line block ×4, first 2 shown]
	ds_read_b64 v[38:39], v208
	ds_read_b64 v[36:37], v207 offset:13824
                                        ; implicit-def: $vgpr16
                                        ; implicit-def: $vgpr28
                                        ; implicit-def: $vgpr20
                                        ; implicit-def: $vgpr32
                                        ; implicit-def: $vgpr24
                                        ; implicit-def: $vgpr40
                                        ; implicit-def: $vgpr42
                                        ; implicit-def: $vgpr46
                                        ; implicit-def: $vgpr22
                                        ; implicit-def: $vgpr18
	s_and_saveexec_b64 s[2:3], s[4:5]
	s_cbranch_execz .LBB0_5
; %bb.4:
	v_add_u32_e32 v32, 0x1c0, v207
	ds_read2st64_b64 v[16:19], v32 offset0:25 offset1:28
	ds_read2st64_b64 v[24:27], v32 offset0:1 offset1:4
	;; [unrolled: 1-line block ×5, first 2 shown]
	s_waitcnt lgkmcnt(4)
	v_mov_b32_e32 v40, v19
	v_mov_b32_e32 v41, v18
	s_waitcnt lgkmcnt(2)
	v_mov_b32_e32 v42, v31
	v_mov_b32_e32 v43, v30
	;; [unrolled: 3-line block ×4, first 2 shown]
	v_mov_b32_e32 v18, v27
	v_mov_b32_e32 v19, v26
.LBB0_5:
	s_or_b64 exec, exec, s[2:3]
	v_pk_add_f32 v[30:31], v[32:33], v[20:21] neg_lo:[0,1] neg_hi:[0,1]
	v_pk_add_f32 v[58:59], v[28:29], v[16:17] neg_lo:[0,1] neg_hi:[0,1]
	v_pk_add_f32 v[26:27], v[28:29], v[32:33]
	v_pk_add_f32 v[58:59], v[58:59], v[30:31]
	;; [unrolled: 1-line block ×3, first 2 shown]
	v_pk_add_f32 v[52:53], v[32:33], v[28:29] neg_lo:[0,1] neg_hi:[0,1]
	v_pk_add_f32 v[30:31], v[32:33], v[30:31]
	v_pk_add_f32 v[56:57], v[16:17], v[28:29] neg_lo:[0,1] neg_hi:[0,1]
	v_pk_add_f32 v[28:29], v[28:29], v[30:31]
	s_mov_b32 s12, 0x3f737871
	s_mov_b64 s[2:3], 0x78
	v_pk_add_f32 v[34:35], v[20:21], v[16:17] neg_lo:[0,1] neg_hi:[0,1]
	v_pk_add_f32 v[28:29], v[16:17], v[28:29]
	s_mov_b32 s13, 0xbf737871
	v_pk_add_f32 v[16:17], v[16:17], v[20:21]
	v_lshl_add_u64 v[44:45], v[90:91], 0, s[2:3]
	v_pk_add_f32 v[54:55], v[20:21], v[32:33] neg_lo:[0,1] neg_hi:[0,1]
	v_pk_add_f32 v[30:31], v[46:47], v[18:19]
	s_mov_b32 s2, 0x3f167918
	v_pk_fma_f32 v[16:17], v[16:17], 0.5, v[24:25] op_sel_hi:[1,0,1] neg_lo:[1,0,0] neg_hi:[1,0,0]
	v_pk_mul_f32 v[20:21], v[52:53], s[12:13] op_sel_hi:[1,0]
	v_pk_add_f32 v[30:31], v[22:23], v[30:31]
	v_pk_fma_f32 v[26:27], v[26:27], 0.5, v[24:25] op_sel_hi:[1,0,1] neg_lo:[1,0,0] neg_hi:[1,0,0]
	v_pk_mul_f32 v[68:69], v[34:35], s[12:13] op_sel_hi:[1,0]
	v_pk_add_f32 v[24:25], v[16:17], v[20:21] op_sel:[0,1] op_sel_hi:[1,0] neg_lo:[0,1] neg_hi:[0,1]
	v_pk_mul_f32 v[34:35], v[34:35], s[2:3] op_sel_hi:[1,0]
	v_pk_add_f32 v[16:17], v[20:21], v[16:17] op_sel:[1,0] op_sel_hi:[0,1]
	v_pk_add_f32 v[62:63], v[22:23], v[42:43] neg_lo:[0,1] neg_hi:[0,1]
	v_pk_add_f32 v[30:31], v[42:43], v[30:31]
	v_pk_add_f32 v[24:25], v[34:35], v[24:25] op_sel:[1,0] op_sel_hi:[0,1]
	v_pk_add_f32 v[16:17], v[16:17], v[34:35] op_sel:[0,1] op_sel_hi:[1,0] neg_lo:[0,1] neg_hi:[0,1]
	v_pk_add_f32 v[34:35], v[40:41], v[46:47]
	v_pk_add_f32 v[60:61], v[46:47], v[40:41] neg_lo:[0,1] neg_hi:[0,1]
	v_pk_add_f32 v[64:65], v[46:47], v[22:23] neg_lo:[0,1] neg_hi:[0,1]
	;; [unrolled: 1-line block ×3, first 2 shown]
	v_pk_add_f32 v[30:31], v[40:41], v[30:31]
	v_pk_add_f32 v[32:33], v[22:23], v[42:43]
	v_pk_mul_f32 v[70:71], v[52:53], s[2:3] op_sel_hi:[1,0]
	v_pk_add_f32 v[54:55], v[56:57], v[54:55]
	v_pk_add_f32 v[56:57], v[26:27], v[68:69] op_sel:[0,1] op_sel_hi:[1,0] neg_lo:[0,1] neg_hi:[0,1]
	v_pk_add_f32 v[26:27], v[26:27], v[68:69] op_sel:[0,1] op_sel_hi:[1,0]
	v_pk_fma_f32 v[34:35], v[34:35], 0.5, v[18:19] op_sel_hi:[1,0,1] neg_lo:[1,0,0] neg_hi:[1,0,0]
	v_pk_mul_f32 v[52:53], v[62:63], s[12:13] op_sel_hi:[1,0]
	v_pk_add_f32 v[22:23], v[22:23], v[46:47] neg_lo:[0,1] neg_hi:[0,1]
	v_pk_add_f32 v[40:41], v[42:43], v[40:41] neg_lo:[0,1] neg_hi:[0,1]
	v_pk_add_f32 v[26:27], v[26:27], v[70:71] op_sel:[0,1] op_sel_hi:[1,0]
	v_pk_add_f32 v[56:57], v[56:57], v[70:71] op_sel:[0,1] op_sel_hi:[1,0] neg_lo:[0,1] neg_hi:[0,1]
	v_pk_mul_f32 v[70:71], v[60:61], s[2:3] op_sel_hi:[1,0]
	v_pk_add_f32 v[22:23], v[40:41], v[22:23]
	v_pk_add_f32 v[40:41], v[34:35], v[52:53] op_sel:[0,1] op_sel_hi:[1,0]
	v_pk_add_f32 v[34:35], v[34:35], v[52:53] op_sel:[0,1] op_sel_hi:[1,0] neg_lo:[0,1] neg_hi:[0,1]
	v_pk_add_f32 v[40:41], v[40:41], v[70:71] op_sel:[0,1] op_sel_hi:[1,0] neg_lo:[0,1] neg_hi:[0,1]
	v_pk_add_f32 v[34:35], v[34:35], v[70:71] op_sel:[0,1] op_sel_hi:[1,0]
	s_mov_b32 s6, 0x3e9e377a
	v_mov_b32_e32 v20, v16
	v_mov_b32_e32 v21, v25
	;; [unrolled: 1-line block ×6, first 2 shown]
	v_pk_fma_f32 v[16:17], v[32:33], 0.5, v[18:19] op_sel_hi:[1,0,1] neg_lo:[1,0,0] neg_hi:[1,0,0]
	v_pk_mul_f32 v[18:19], v[60:61], s[12:13] op_sel_hi:[1,0]
	v_pk_fma_f32 v[42:43], v[22:23], s[6:7], v[42:43] op_sel_hi:[1,0,1]
	v_pk_fma_f32 v[22:23], v[22:23], s[6:7], v[34:35] op_sel_hi:[1,0,1]
	;; [unrolled: 1-line block ×4, first 2 shown]
	v_pk_mul_f32 v[20:21], v[62:63], s[2:3] op_sel_hi:[1,0]
	v_pk_add_f32 v[24:25], v[16:17], v[18:19] op_sel:[0,1] op_sel_hi:[1,0]
	v_pk_add_f32 v[16:17], v[16:17], v[18:19] op_sel:[0,1] op_sel_hi:[1,0] neg_lo:[0,1] neg_hi:[0,1]
	v_pk_mul_f32 v[34:35], v[22:23], s[6:7] op_sel_hi:[1,0]
	v_pk_add_f32 v[16:17], v[16:17], v[20:21] op_sel:[0,1] op_sel_hi:[1,0] neg_lo:[0,1] neg_hi:[0,1]
	v_pk_add_f32 v[18:19], v[24:25], v[20:21] op_sel:[0,1] op_sel_hi:[1,0]
	v_pk_fma_f32 v[40:41], v[22:23], s[12:13], v[34:35] op_sel:[0,0,1] op_sel_hi:[1,1,0] neg_lo:[0,0,1] neg_hi:[0,0,1]
	v_pk_add_f32 v[22:23], v[66:67], v[64:65]
	v_mov_b32_e32 v20, v18
	v_mov_b32_e32 v21, v17
	v_pk_mul_f32 v[24:25], v[42:43], s[6:7] op_sel_hi:[1,0]
	v_mov_b32_e32 v17, v19
	v_pk_fma_f32 v[20:21], v[22:23], s[6:7], v[20:21] op_sel_hi:[1,0,1]
	v_pk_fma_f32 v[58:59], v[42:43], s[12:13], v[24:25] op_sel:[0,0,1] op_sel_hi:[1,0,0]
	v_pk_fma_f32 v[24:25], v[42:43], s[12:13], v[24:25] op_sel:[0,0,1] op_sel_hi:[1,0,0] neg_lo:[1,0,0] neg_hi:[1,0,0]
	s_mov_b32 s3, 0xbf167918
	s_mov_b32 s18, 0x3f4f1bbd
	v_pk_fma_f32 v[16:17], v[22:23], s[6:7], v[16:17] op_sel_hi:[1,0,1]
	v_mov_b32_e32 v68, v56
	v_mov_b32_e32 v69, v27
	;; [unrolled: 1-line block ×3, first 2 shown]
	v_pk_mul_f32 v[24:25], v[20:21], s[18:19] op_sel_hi:[1,0]
	v_pk_mul_f32 v[18:19], v[16:17], s[2:3] op_sel_hi:[1,0]
	v_pk_fma_f32 v[68:69], v[54:55], s[6:7], v[68:69] op_sel_hi:[1,0,1]
	v_pk_fma_f32 v[42:43], v[20:21], s[2:3], v[24:25] op_sel:[0,0,1] op_sel_hi:[1,1,0] neg_lo:[0,0,1] neg_hi:[0,0,1]
	v_mov_b32_e32 v27, v57
	v_pk_fma_f32 v[20:21], v[16:17], s[18:19], v[18:19] op_sel:[0,0,1] op_sel_hi:[1,0,0]
	v_pk_fma_f32 v[16:17], v[16:17], s[18:19], v[18:19] op_sel:[0,0,1] op_sel_hi:[1,0,0] neg_lo:[0,0,1] neg_hi:[0,0,1]
	s_waitcnt lgkmcnt(1)
	v_pk_add_f32 v[48:49], v[38:39], v[2:3]
	v_pk_fma_f32 v[32:33], v[54:55], s[6:7], v[26:27] op_sel_hi:[1,0,1]
	v_mov_b32_e32 v34, v21
	v_mov_b32_e32 v35, v16
	v_pk_add_f32 v[16:17], v[46:47], v[58:59]
	v_pk_add_f32 v[18:19], v[52:53], v[40:41]
	;; [unrolled: 1-line block ×3, first 2 shown]
	v_pk_add_f32 v[26:27], v[46:47], v[58:59] neg_lo:[0,1] neg_hi:[0,1]
	v_pk_add_f32 v[52:53], v[52:53], v[40:41] neg_lo:[0,1] neg_hi:[0,1]
	;; [unrolled: 1-line block ×3, first 2 shown]
	v_mul_lo_u16_e32 v40, 10, v90
	v_pk_add_f32 v[42:43], v[6:7], v[10:11]
	v_pk_add_f32 v[46:47], v[2:3], v[14:15] neg_lo:[0,1] neg_hi:[0,1]
	v_add_lshl_u32 v150, v209, v40, 3
	v_pk_add_f32 v[40:41], v[48:49], v[6:7]
	v_pk_fma_f32 v[42:43], v[42:43], 0.5, v[38:39] op_sel_hi:[1,0,1] neg_lo:[1,0,0] neg_hi:[1,0,0]
	v_pk_mul_f32 v[48:49], v[46:47], s[12:13] op_sel_hi:[1,0]
	v_pk_add_f32 v[58:59], v[6:7], v[10:11] neg_lo:[0,1] neg_hi:[0,1]
	v_pk_add_f32 v[62:63], v[2:3], v[6:7] neg_lo:[0,1] neg_hi:[0,1]
	;; [unrolled: 1-line block ×3, first 2 shown]
	v_pk_mul_f32 v[60:61], v[58:59], s[2:3] op_sel_hi:[1,0]
	v_pk_add_f32 v[62:63], v[62:63], v[64:65]
	v_pk_add_f32 v[64:65], v[42:43], v[48:49] op_sel:[0,1] op_sel_hi:[1,0]
	v_pk_add_f32 v[42:43], v[42:43], v[48:49] op_sel:[0,1] op_sel_hi:[1,0] neg_lo:[0,1] neg_hi:[0,1]
	v_pk_add_f32 v[40:41], v[40:41], v[10:11]
	v_pk_add_f32 v[42:43], v[42:43], v[60:61] op_sel:[0,1] op_sel_hi:[1,0] neg_lo:[0,1] neg_hi:[0,1]
	v_pk_add_f32 v[60:61], v[64:65], v[60:61] op_sel:[0,1] op_sel_hi:[1,0]
	v_mov_b32_e32 v49, v43
	v_mov_b32_e32 v48, v60
	v_pk_add_f32 v[56:57], v[40:41], v[14:15]
	v_pk_fma_f32 v[64:65], v[62:63], s[6:7], v[48:49] op_sel_hi:[1,0,1]
	v_pk_add_f32 v[48:49], v[2:3], v[14:15]
	v_pk_add_f32 v[2:3], v[6:7], v[2:3] neg_lo:[0,1] neg_hi:[0,1]
	v_pk_add_f32 v[6:7], v[10:11], v[14:15] neg_lo:[0,1] neg_hi:[0,1]
	v_pk_add_f32 v[10:11], v[8:9], v[12:13] neg_lo:[0,1] neg_hi:[0,1]
	s_waitcnt lgkmcnt(0)
	v_pk_add_f32 v[14:15], v[4:5], v[36:37]
	v_pk_fma_f32 v[38:39], v[48:49], 0.5, v[38:39] op_sel_hi:[1,0,1] neg_lo:[1,0,0] neg_hi:[1,0,0]
	v_pk_add_f32 v[2:3], v[2:3], v[6:7]
	v_pk_add_f32 v[6:7], v[4:5], v[36:37] neg_lo:[0,1] neg_hi:[0,1]
	v_pk_fma_f32 v[14:15], v[14:15], 0.5, v[0:1] op_sel_hi:[1,0,1] neg_lo:[1,0,0] neg_hi:[1,0,0]
	v_pk_mul_f32 v[48:49], v[10:11], s[12:13] op_sel_hi:[1,0]
	v_pk_add_f32 v[68:69], v[8:9], v[4:5] neg_lo:[0,1] neg_hi:[0,1]
	v_pk_add_f32 v[70:71], v[12:13], v[36:37] neg_lo:[0,1] neg_hi:[0,1]
	v_pk_mul_f32 v[66:67], v[6:7], s[2:3] op_sel_hi:[1,0]
	v_pk_add_f32 v[68:69], v[68:69], v[70:71]
	v_pk_add_f32 v[70:71], v[14:15], v[48:49] op_sel:[0,1] op_sel_hi:[1,0] neg_lo:[0,1] neg_hi:[0,1]
	v_pk_add_f32 v[14:15], v[14:15], v[48:49] op_sel:[0,1] op_sel_hi:[1,0]
	v_pk_add_f32 v[48:49], v[70:71], v[66:67] op_sel:[0,1] op_sel_hi:[1,0]
	v_pk_add_f32 v[14:15], v[14:15], v[66:67] op_sel:[0,1] op_sel_hi:[1,0] neg_lo:[0,1] neg_hi:[0,1]
	v_mov_b32_e32 v66, v48
	v_mov_b32_e32 v67, v15
	v_pk_fma_f32 v[66:67], v[68:69], s[6:7], v[66:67] op_sel_hi:[1,0,1]
	v_pk_mul_f32 v[58:59], v[58:59], s[12:13] op_sel_hi:[1,0]
	v_pk_mul_f32 v[70:71], v[66:67], s[12:13] op_sel_hi:[1,0]
	;; [unrolled: 1-line block ×3, first 2 shown]
	v_pk_fma_f32 v[72:73], v[66:67], s[6:7], v[70:71] op_sel:[0,0,1] op_sel_hi:[1,0,0]
	v_pk_fma_f32 v[66:67], v[66:67], s[6:7], v[70:71] op_sel:[0,0,1] op_sel_hi:[1,0,0] neg_lo:[0,0,1] neg_hi:[0,0,1]
	v_pk_add_f32 v[50:51], v[0:1], v[4:5]
	v_mov_b32_e32 v73, v67
	v_pk_add_f32 v[66:67], v[38:39], v[58:59] op_sel:[0,1] op_sel_hi:[1,0] neg_lo:[0,1] neg_hi:[0,1]
	v_pk_add_f32 v[38:39], v[38:39], v[58:59] op_sel:[0,1] op_sel_hi:[1,0]
	v_pk_add_f32 v[58:59], v[66:67], v[46:47] op_sel:[0,1] op_sel_hi:[1,0]
	v_pk_add_f32 v[38:39], v[38:39], v[46:47] op_sel:[0,1] op_sel_hi:[1,0] neg_lo:[0,1] neg_hi:[0,1]
	v_mov_b32_e32 v46, v58
	v_mov_b32_e32 v47, v39
	;; [unrolled: 1-line block ×3, first 2 shown]
	v_pk_fma_f32 v[66:67], v[2:3], s[6:7], v[46:47] op_sel_hi:[1,0,1]
	v_pk_fma_f32 v[38:39], v[2:3], s[6:7], v[38:39] op_sel_hi:[1,0,1]
	v_pk_add_f32 v[2:3], v[8:9], v[12:13]
	v_pk_mul_f32 v[6:7], v[6:7], s[12:13] op_sel_hi:[1,0]
	v_pk_fma_f32 v[0:1], v[2:3], 0.5, v[0:1] op_sel_hi:[1,0,1] neg_lo:[1,0,0] neg_hi:[1,0,0]
	v_pk_add_f32 v[40:41], v[50:51], v[8:9]
	v_pk_add_f32 v[2:3], v[4:5], v[8:9] neg_lo:[0,1] neg_hi:[0,1]
	v_pk_add_f32 v[4:5], v[36:37], v[12:13] neg_lo:[0,1] neg_hi:[0,1]
	v_pk_add_f32 v[8:9], v[0:1], v[6:7] op_sel:[0,1] op_sel_hi:[1,0]
	v_pk_mul_f32 v[10:11], v[10:11], s[2:3] op_sel_hi:[1,0]
	v_pk_add_f32 v[0:1], v[0:1], v[6:7] op_sel:[0,1] op_sel_hi:[1,0] neg_lo:[0,1] neg_hi:[0,1]
	v_pk_add_f32 v[2:3], v[2:3], v[4:5]
	v_pk_add_f32 v[8:9], v[10:11], v[8:9] op_sel:[1,0] op_sel_hi:[0,1]
	v_pk_add_f32 v[0:1], v[0:1], v[10:11] op_sel:[0,1] op_sel_hi:[1,0] neg_lo:[0,1] neg_hi:[0,1]
	v_mov_b32_e32 v15, v49
	v_pk_fma_f32 v[6:7], v[2:3], s[6:7], v[0:1] op_sel_hi:[1,0,1]
	v_mov_b32_e32 v1, v9
	v_pk_fma_f32 v[14:15], v[68:69], s[6:7], v[14:15] op_sel_hi:[1,0,1]
	;; [unrolled: 2-line block ×3, first 2 shown]
	v_pk_add_f32 v[40:41], v[40:41], v[12:13]
	v_pk_mul_f32 v[48:49], v[14:15], s[6:7] op_sel_hi:[1,0]
	v_pk_fma_f32 v[4:5], v[62:63], s[6:7], v[42:43] op_sel_hi:[1,0,1]
	v_pk_fma_f32 v[12:13], v[2:3], s[6:7], v[8:9] op_sel_hi:[1,0,1]
	s_mov_b32 s6, s3
	s_mov_b32 s7, s2
	v_pk_mul_f32 v[2:3], v[0:1], s[18:19] op_sel_hi:[1,0]
	s_mov_b32 s19, s2
	s_load_dwordx2 s[0:1], s[0:1], 0x8
	v_pk_fma_f32 v[8:9], v[0:1], s[6:7], v[2:3] op_sel:[0,0,1] op_sel_hi:[1,1,0] neg_lo:[0,0,1] neg_hi:[0,0,1]
	v_pk_mul_f32 v[0:1], v[12:13], s[18:19] op_sel_hi:[0,1]
	s_mov_b32 s3, s18
	v_pk_add_f32 v[50:51], v[40:41], v[36:37]
	v_pk_fma_f32 v[10:11], v[6:7], s[2:3], v[0:1] op_sel:[1,0,0]
	v_pk_fma_f32 v[0:1], v[6:7], s[2:3], v[0:1] op_sel:[1,0,0] neg_lo:[0,0,1] neg_hi:[0,0,1]
	v_pk_add_f32 v[6:7], v[4:5], v[8:9] op_sel:[1,0] op_sel_hi:[0,1]
	s_mov_b32 s20, s13
	s_mov_b32 s21, s12
	v_mov_b32_e32 v11, v1
	v_pk_add_f32 v[2:3], v[56:57], v[50:51] neg_lo:[0,1] neg_hi:[0,1]
	v_mov_b32_e32 v0, v7
	v_mov_b32_e32 v1, v6
	s_waitcnt lgkmcnt(0)
	s_barrier
	v_pk_fma_f32 v[14:15], v[14:15], s[20:21], v[48:49] op_sel:[0,0,1] op_sel_hi:[1,1,0] neg_lo:[0,0,1] neg_hi:[0,0,1]
	ds_write_b128 v150, v[0:3] offset:32
	v_pk_add_f32 v[0:1], v[64:65], v[10:11] neg_lo:[0,1] neg_hi:[0,1]
	v_pk_add_f32 v[2:3], v[66:67], v[72:73] neg_lo:[0,1] neg_hi:[0,1]
	v_pk_add_f32 v[4:5], v[4:5], v[8:9] op_sel:[1,0] op_sel_hi:[0,1] neg_lo:[0,1] neg_hi:[0,1]
	v_pk_add_f32 v[22:23], v[28:29], v[30:31] op_sel:[0,1] op_sel_hi:[1,0] neg_lo:[0,1] neg_hi:[0,1]
	v_pk_add_f32 v[24:25], v[32:33], v[34:35] neg_lo:[0,1] neg_hi:[0,1]
	v_pk_add_f32 v[40:41], v[56:57], v[50:51]
	v_pk_add_f32 v[46:47], v[66:67], v[72:73]
	v_pk_add_f32 v[48:49], v[38:39], v[14:15] op_sel:[0,1] op_sel_hi:[1,0]
	v_pk_add_f32 v[42:43], v[64:65], v[10:11]
	ds_write_b128 v150, v[0:3] offset:48
	v_pk_add_f32 v[0:1], v[38:39], v[14:15] op_sel:[0,1] op_sel_hi:[1,0] neg_lo:[0,1] neg_hi:[0,1]
	v_mov_b32_e32 v2, v5
	v_mov_b32_e32 v3, v4
	v_mul_u32_u24_e32 v151, 10, v44
	ds_write_b128 v150, v[46:49] offset:16
	ds_write_b128 v150, v[40:43]
	ds_write_b128 v150, v[0:3] offset:64
	s_and_saveexec_b64 s[2:3], s[4:5]
	s_cbranch_execz .LBB0_7
; %bb.6:
	v_mov_b32_e32 v0, v31
	v_mov_b32_e32 v1, v30
	v_add_lshl_u32 v4, v209, v151, 3
	v_pk_add_f32 v[0:1], v[0:1], v[28:29]
	v_pk_add_f32 v[2:3], v[32:33], v[34:35]
	ds_write_b128 v4, v[0:3]
	ds_write_b128 v4, v[16:19] offset:16
	ds_write_b128 v4, v[20:23] offset:32
	;; [unrolled: 1-line block ×4, first 2 shown]
.LBB0_7:
	s_or_b64 exec, exec, s[2:3]
	v_add_u32_e32 v0, 0x300, v207
	s_waitcnt lgkmcnt(0)
	s_barrier
	ds_read2_b64 v[28:31], v0 offset0:24 offset1:224
	v_add_u32_e32 v0, 0xd00, v207
	ds_read2_b64 v[60:63], v0 offset0:24 offset1:224
	v_add_u32_e32 v0, 0x1700, v207
	;; [unrolled: 2-line block ×4, first 2 shown]
	ds_read2_b64 v[32:35], v0 offset0:24 offset1:224
	ds_read_b64 v[66:67], v208
	ds_read_b64 v[64:65], v207 offset:13760
	s_movk_i32 s2, 0x50
	v_cmp_gt_u16_e64 s[2:3], s2, v90
	s_and_saveexec_b64 s[6:7], s[2:3]
	s_cbranch_execz .LBB0_9
; %bb.8:
	v_add_u32_e32 v0, 0x180, v207
	ds_read2st64_b64 v[16:19], v0 offset0:3 offset1:8
	ds_read2st64_b64 v[20:23], v0 offset0:13 offset1:18
	ds_read2st64_b64 v[24:27], v0 offset0:23 offset1:28
.LBB0_9:
	s_or_b64 exec, exec, s[6:7]
	s_movk_i32 s12, 0xcd
	v_mul_lo_u16_sdwa v0, v90, s12 dst_sel:DWORD dst_unused:UNUSED_PAD src0_sel:BYTE_0 src1_sel:DWORD
	v_lshrrev_b16_e32 v45, 11, v0
	v_mul_lo_u16_e32 v0, 10, v45
	v_sub_u16_e32 v0, v90, v0
	v_and_b32_e32 v48, 0xff, v0
	v_add_u16_e32 v0, 0xf0, v90
	v_mul_u32_u24_e32 v1, 0xcccd, v0
	v_lshrrev_b32_e32 v83, 19, v1
	v_mul_lo_u16_e32 v1, 10, v83
	v_sub_u16_e32 v91, v0, v1
	v_mul_lo_u16_e32 v72, 40, v91
	v_mov_b32_e32 v73, 0
	v_lshl_add_u64 v[8:9], s[0:1], 0, v[72:73]
	v_mad_u64_u32 v[46:47], s[6:7], v48, 40, s[0:1]
	global_load_dwordx4 v[4:7], v[8:9], off offset:16
	global_load_dwordx2 v[114:115], v[8:9], off offset:32
	global_load_dwordx4 v[0:3], v[8:9], off
	global_load_dwordx4 v[12:15], v[46:47], off
	s_nop 0
	global_load_dwordx4 v[8:11], v[46:47], off offset:16
	global_load_dwordx2 v[118:119], v[46:47], off offset:32
	v_mul_lo_u16_sdwa v49, v44, s12 dst_sel:DWORD dst_unused:UNUSED_PAD src0_sel:BYTE_0 src1_sel:DWORD
	v_lshrrev_b16_e32 v128, 11, v49
	v_mul_lo_u16_e32 v46, 10, v128
	v_sub_u16_e32 v44, v44, v46
	v_and_b32_e32 v129, 0xff, v44
	v_mul_u32_u24_e32 v45, 60, v45
	v_mad_u64_u32 v[56:57], s[12:13], v129, 40, s[0:1]
	v_add_u32_e32 v58, v45, v48
	global_load_dwordx2 v[120:121], v[56:57], off offset:32
	global_load_dwordx4 v[44:47], v[56:57], off offset:16
	global_load_dwordx4 v[48:51], v[56:57], off
	v_add_lshl_u32 v210, v209, v58, 3
	s_mov_b32 s6, 0x3f5db3d7
	s_mov_b32 s7, 0xbf5db3d7
	s_waitcnt lgkmcnt(0)
	s_barrier
	v_mad_legacy_u16 v212, v83, 60, v91
	s_waitcnt vmcnt(8)
	v_pk_mul_f32 v[56:57], v[22:23], v[4:5] op_sel:[1,0]
	s_waitcnt vmcnt(7)
	v_pk_mul_f32 v[58:59], v[26:27], v[114:115] op_sel:[1,0]
	;; [unrolled: 2-line block ×4, first 2 shown]
	v_pk_mul_f32 v[78:79], v[24:25], v[6:7] op_sel:[1,0]
	v_pk_fma_f32 v[122:123], v[42:43], v[8:9], v[116:117] op_sel:[0,0,1] op_sel_hi:[1,1,0] neg_lo:[0,0,1] neg_hi:[0,0,1]
	v_pk_fma_f32 v[42:43], v[42:43], v[8:9], v[116:117] op_sel:[0,0,1] op_sel_hi:[1,0,0]
	v_pk_mul_f32 v[84:85], v[18:19], v[0:1] op_sel_hi:[0,1]
	v_mov_b32_e32 v42, v11
	v_pk_mul_f32 v[86:87], v[30:31], v[12:13] op_sel:[0,1]
	v_mov_b32_e32 v72, v15
	v_mov_b32_e32 v123, v43
	v_pk_mul_f32 v[42:43], v[38:39], v[42:43] op_sel_hi:[1,0]
	v_pk_fma_f32 v[68:69], v[22:23], v[4:5], v[56:57] op_sel:[0,0,1] op_sel_hi:[1,1,0] neg_lo:[0,0,1] neg_hi:[0,0,1]
	v_pk_fma_f32 v[70:71], v[22:23], v[4:5], v[56:57] op_sel:[0,0,1] op_sel_hi:[0,1,0]
	v_pk_fma_f32 v[22:23], v[26:27], v[114:115], v[58:59] op_sel:[0,0,1] op_sel_hi:[1,1,0] neg_lo:[0,0,1] neg_hi:[0,0,1]
	v_pk_fma_f32 v[74:75], v[26:27], v[114:115], v[58:59] op_sel:[0,0,1] op_sel_hi:[0,1,0]
	;; [unrolled: 2-line block ×4, first 2 shown]
	v_pk_fma_f32 v[24:25], v[18:19], v[0:1], v[84:85] op_sel:[1,0,1] op_sel_hi:[1,1,0]
	v_pk_fma_f32 v[18:19], v[18:19], v[0:1], v[84:85] op_sel:[1,0,1] op_sel_hi:[1,1,0] neg_lo:[1,0,0] neg_hi:[1,0,0]
	v_pk_fma_f32 v[84:85], v[30:31], v[12:13], v[86:87] op_sel:[0,0,1] op_sel_hi:[1,1,0] neg_lo:[0,0,1] neg_hi:[0,0,1]
	v_pk_fma_f32 v[30:31], v[30:31], v[12:13], v[86:87] op_sel:[0,0,1] op_sel_hi:[1,0,0]
	v_pk_mul_f32 v[76:77], v[62:63], v[72:73] op_sel_hi:[1,0]
	v_pk_fma_f32 v[116:117], v[38:39], v[10:11], v[42:43] op_sel:[0,0,1] op_sel_hi:[1,1,0] neg_lo:[0,0,1] neg_hi:[0,0,1]
	v_pk_fma_f32 v[38:39], v[38:39], v[10:11], v[42:43] op_sel:[0,0,1] op_sel_hi:[1,0,0]
	v_mov_b32_e32 v85, v31
	v_pk_fma_f32 v[86:87], v[62:63], v[14:15], v[76:77] op_sel:[0,0,1] op_sel_hi:[1,1,0] neg_lo:[0,0,1] neg_hi:[0,0,1]
	v_pk_fma_f32 v[30:31], v[62:63], v[14:15], v[76:77] op_sel:[0,0,1] op_sel_hi:[1,0,0]
	v_mov_b32_e32 v117, v39
	s_waitcnt vmcnt(3)
	v_pk_mul_f32 v[38:39], v[34:35], v[118:119] op_sel:[0,1]
	v_mov_b32_e32 v27, v57
	v_mov_b32_e32 v21, v59
	;; [unrolled: 1-line block ×8, first 2 shown]
	v_pk_fma_f32 v[42:43], v[34:35], v[118:119], v[38:39] op_sel:[0,0,1] op_sel_hi:[1,1,0] neg_lo:[0,0,1] neg_hi:[0,0,1]
	v_pk_fma_f32 v[34:35], v[34:35], v[118:119], v[38:39] op_sel:[0,0,1] op_sel_hi:[1,0,0]
	v_pk_add_f32 v[58:59], v[26:27], v[20:21]
	v_pk_add_f32 v[62:63], v[26:27], v[20:21] neg_lo:[0,1] neg_hi:[0,1]
	v_pk_add_f32 v[76:77], v[18:19], v[56:57]
	v_pk_add_f32 v[18:19], v[18:19], v[56:57] neg_lo:[0,1] neg_hi:[0,1]
	v_mov_b32_e32 v43, v35
	v_pk_add_f32 v[126:127], v[86:87], v[116:117]
	v_pk_fma_f32 v[30:31], v[58:59], 0.5, v[16:17] op_sel_hi:[1,0,1] neg_lo:[1,0,0] neg_hi:[1,0,0]
	v_pk_mul_f32 v[56:57], v[62:63], s[6:7] op_sel_hi:[1,0]
	v_pk_fma_f32 v[58:59], v[76:77], 0.5, v[24:25] op_sel_hi:[1,0,1] neg_lo:[1,0,0] neg_hi:[1,0,0]
	v_pk_mul_f32 v[76:77], v[18:19], s[6:7] op_sel_hi:[1,0]
	v_pk_add_f32 v[34:35], v[66:67], v[86:87]
	v_pk_add_f32 v[38:39], v[84:85], v[122:123]
	v_pk_fma_f32 v[66:67], v[126:127], 0.5, v[66:67] op_sel_hi:[1,0,1] neg_lo:[1,0,0] neg_hi:[1,0,0]
	v_pk_add_f32 v[126:127], v[122:123], v[42:43]
	v_pk_add_f32 v[18:19], v[56:57], v[30:31] op_sel:[1,0] op_sel_hi:[0,1]
	v_pk_add_f32 v[62:63], v[30:31], v[56:57] op_sel:[0,1] op_sel_hi:[1,0] neg_lo:[0,1] neg_hi:[0,1]
	v_pk_add_f32 v[56:57], v[76:77], v[58:59] op_sel:[1,0] op_sel_hi:[0,1]
	v_pk_add_f32 v[58:59], v[58:59], v[76:77] op_sel:[0,1] op_sel_hi:[1,0] neg_lo:[0,1] neg_hi:[0,1]
	v_pk_add_f32 v[38:39], v[38:39], v[42:43]
	v_pk_fma_f32 v[84:85], v[126:127], 0.5, v[84:85] op_sel_hi:[1,0,1] neg_lo:[1,0,0] neg_hi:[1,0,0]
	v_pk_add_f32 v[42:43], v[122:123], v[42:43] neg_lo:[0,1] neg_hi:[0,1]
	v_mov_b32_e32 v78, v56
	v_mov_b32_e32 v79, v59
	v_mul_f32_e32 v76, 0x3f5db3d7, v58
	v_mul_f32_e32 v77, 0xbf5db3d7, v57
	v_pk_add_f32 v[86:87], v[86:87], v[116:117] neg_lo:[0,1] neg_hi:[0,1]
	v_pk_fma_f32 v[122:123], v[42:43], s[6:7], v[84:85] op_sel:[0,0,1] op_sel_hi:[1,0,0]
	v_pk_fma_f32 v[42:43], v[42:43], s[6:7], v[84:85] op_sel:[0,0,1] op_sel_hi:[1,0,0] neg_lo:[1,0,0] neg_hi:[1,0,0]
	v_mov_b32_e32 v31, v19
	v_mov_b32_e32 v19, v63
	v_fmac_f32_e32 v76, 0.5, v57
	v_fmac_f32_e32 v77, 0.5, v58
	v_pk_mul_f32 v[56:57], v[78:79], 0.5 op_sel_hi:[1,0]
	v_pk_mul_f32 v[86:87], v[86:87], s[6:7] op_sel_hi:[1,0]
	v_mov_b32_e32 v84, v122
	v_mov_b32_e32 v85, v43
	v_mul_f32_e32 v23, 0xbf5db3d7, v123
	v_pk_fma_f32 v[78:79], v[78:79], s[6:7], v[56:57] op_sel:[0,0,1] op_sel_hi:[1,1,0] neg_lo:[0,0,1] neg_hi:[0,0,1]
	v_pk_add_f32 v[56:57], v[18:19], v[76:77] neg_lo:[0,1] neg_hi:[0,1]
	v_pk_add_f32 v[34:35], v[34:35], v[116:117]
	v_pk_add_f32 v[116:117], v[86:87], v[66:67] op_sel:[1,0] op_sel_hi:[0,1]
	v_pk_add_f32 v[66:67], v[66:67], v[86:87] op_sel:[0,1] op_sel_hi:[1,0] neg_lo:[0,1] neg_hi:[0,1]
	v_mul_f32_e32 v19, 0x3f5db3d7, v42
	v_fmac_f32_e32 v23, 0.5, v42
	v_pk_mul_f32 v[42:43], v[84:85], 0.5 op_sel_hi:[1,0]
	v_mov_b32_e32 v86, v66
	v_mov_b32_e32 v87, v117
	v_pk_fma_f32 v[42:43], v[84:85], s[6:7], v[42:43] op_sel:[0,0,1] op_sel_hi:[1,1,0] neg_lo:[0,0,1] neg_hi:[0,0,1]
	v_pk_add_f32 v[124:125], v[34:35], v[38:39]
	v_fmac_f32_e32 v19, 0.5, v123
	v_pk_add_f32 v[84:85], v[86:87], v[42:43]
	v_pk_add_f32 v[34:35], v[34:35], v[38:39] neg_lo:[0,1] neg_hi:[0,1]
	v_add_f32_e32 v123, v67, v23
	v_sub_f32_e32 v66, v116, v19
	v_sub_f32_e32 v67, v67, v23
	ds_write2_b64 v210, v[84:85], v[34:35] offset0:20 offset1:30
	v_pk_add_f32 v[34:35], v[86:87], v[42:43] neg_lo:[0,1] neg_hi:[0,1]
	ds_write2_b64 v210, v[66:67], v[34:35] offset0:40 offset1:50
	s_waitcnt vmcnt(0)
	v_pk_mul_f32 v[34:35], v[60:61], v[48:49] op_sel:[0,1]
	v_add_f32_e32 v122, v116, v19
	v_pk_fma_f32 v[38:39], v[60:61], v[48:49], v[34:35] op_sel:[0,0,1] op_sel_hi:[1,1,0] neg_lo:[0,0,1] neg_hi:[0,0,1]
	v_pk_fma_f32 v[34:35], v[60:61], v[48:49], v[34:35] op_sel:[0,0,1] op_sel_hi:[1,0,0]
	v_mul_u32_u24_e32 v19, 60, v128
	v_mov_b32_e32 v34, v51
	v_mov_b32_e32 v39, v35
	v_pk_mul_f32 v[34:35], v[40:41], v[34:35] op_sel_hi:[1,0]
	v_add_u32_e32 v19, v19, v129
	v_pk_fma_f32 v[42:43], v[40:41], v[50:51], v[34:35] op_sel:[0,0,1] op_sel_hi:[1,1,0] neg_lo:[0,0,1] neg_hi:[0,0,1]
	v_pk_fma_f32 v[34:35], v[40:41], v[50:51], v[34:35] op_sel:[0,0,1] op_sel_hi:[1,0,0]
	v_add_lshl_u32 v211, v209, v19, 3
	v_mov_b32_e32 v43, v35
	v_pk_mul_f32 v[34:35], v[36:37], v[44:45] op_sel:[0,1]
	v_mov_b32_e32 v30, v62
	v_pk_fma_f32 v[40:41], v[36:37], v[44:45], v[34:35] op_sel:[0,0,1] op_sel_hi:[1,1,0] neg_lo:[0,0,1] neg_hi:[0,0,1]
	v_pk_fma_f32 v[34:35], v[36:37], v[44:45], v[34:35] op_sel:[0,0,1] op_sel_hi:[1,0,0]
	v_pk_add_f32 v[58:59], v[30:31], v[78:79] neg_lo:[0,1] neg_hi:[0,1]
	v_mov_b32_e32 v34, v47
	v_mov_b32_e32 v41, v35
	v_pk_mul_f32 v[34:35], v[32:33], v[34:35] op_sel_hi:[1,0]
	v_pk_add_f32 v[60:61], v[38:39], v[40:41]
	v_pk_fma_f32 v[36:37], v[32:33], v[46:47], v[34:35] op_sel:[0,0,1] op_sel_hi:[1,1,0] neg_lo:[0,0,1] neg_hi:[0,0,1]
	v_pk_fma_f32 v[32:33], v[32:33], v[46:47], v[34:35] op_sel:[0,0,1] op_sel_hi:[1,0,0]
	ds_write2_b64 v210, v[124:125], v[122:123] offset1:10
	v_mov_b32_e32 v37, v33
	v_pk_mul_f32 v[32:33], v[64:65], v[120:121] op_sel:[0,1]
	v_pk_add_f32 v[66:67], v[42:43], v[36:37]
	v_pk_fma_f32 v[34:35], v[64:65], v[120:121], v[32:33] op_sel:[0,0,1] op_sel_hi:[1,1,0] neg_lo:[0,0,1] neg_hi:[0,0,1]
	v_pk_fma_f32 v[32:33], v[64:65], v[120:121], v[32:33] op_sel:[0,0,1] op_sel_hi:[1,0,0]
	s_nop 0
	v_mov_b32_e32 v35, v33
	v_pk_add_f32 v[32:33], v[28:29], v[42:43]
	v_pk_fma_f32 v[28:29], v[66:67], 0.5, v[28:29] op_sel_hi:[1,0,1] neg_lo:[1,0,0] neg_hi:[1,0,0]
	v_pk_add_f32 v[66:67], v[40:41], v[34:35]
	v_pk_add_f32 v[60:61], v[60:61], v[34:35]
	v_pk_fma_f32 v[38:39], v[66:67], 0.5, v[38:39] op_sel_hi:[1,0,1] neg_lo:[1,0,0] neg_hi:[1,0,0]
	v_pk_add_f32 v[34:35], v[40:41], v[34:35] neg_lo:[0,1] neg_hi:[0,1]
	v_pk_add_f32 v[32:33], v[32:33], v[36:37]
	v_pk_add_f32 v[36:37], v[42:43], v[36:37] neg_lo:[0,1] neg_hi:[0,1]
	v_pk_fma_f32 v[40:41], v[34:35], s[6:7], v[38:39] op_sel:[0,0,1] op_sel_hi:[1,0,0]
	v_pk_fma_f32 v[34:35], v[34:35], s[6:7], v[38:39] op_sel:[0,0,1] op_sel_hi:[1,0,0] neg_lo:[1,0,0] neg_hi:[1,0,0]
	v_pk_mul_f32 v[36:37], v[36:37], s[6:7] op_sel_hi:[1,0]
	v_mov_b32_e32 v38, v40
	v_mov_b32_e32 v39, v35
	v_mul_f32_e32 v23, 0xbf5db3d7, v41
	v_pk_add_f32 v[42:43], v[36:37], v[28:29] op_sel:[1,0] op_sel_hi:[0,1]
	v_pk_add_f32 v[28:29], v[28:29], v[36:37] op_sel:[0,1] op_sel_hi:[1,0] neg_lo:[0,1] neg_hi:[0,1]
	v_mul_f32_e32 v19, 0x3f5db3d7, v34
	v_fmac_f32_e32 v23, 0.5, v34
	v_pk_mul_f32 v[34:35], v[38:39], 0.5 op_sel_hi:[1,0]
	v_mov_b32_e32 v36, v28
	v_mov_b32_e32 v37, v43
	v_pk_fma_f32 v[34:35], v[38:39], s[6:7], v[34:35] op_sel:[0,0,1] op_sel_hi:[1,1,0] neg_lo:[0,0,1] neg_hi:[0,0,1]
	v_pk_add_f32 v[64:65], v[32:33], v[60:61]
	v_fmac_f32_e32 v19, 0.5, v41
	v_pk_add_f32 v[38:39], v[36:37], v[34:35]
	v_pk_add_f32 v[32:33], v[32:33], v[60:61] neg_lo:[0,1] neg_hi:[0,1]
	v_add_f32_e32 v40, v42, v19
	v_add_f32_e32 v41, v29, v23
	v_sub_f32_e32 v28, v42, v19
	v_sub_f32_e32 v29, v29, v23
	ds_write2_b64 v211, v[38:39], v[32:33] offset0:20 offset1:30
	v_pk_add_f32 v[32:33], v[36:37], v[34:35] neg_lo:[0,1] neg_hi:[0,1]
	ds_write2_b64 v211, v[64:65], v[40:41] offset1:10
	ds_write2_b64 v211, v[28:29], v[32:33] offset0:40 offset1:50
	s_and_saveexec_b64 s[6:7], s[2:3]
	s_cbranch_execz .LBB0_11
; %bb.10:
	v_mov_b32_e32 v69, v71
	v_pk_add_f32 v[16:17], v[16:17], v[26:27]
	v_mov_b32_e32 v23, v75
	v_pk_add_f32 v[16:17], v[16:17], v[20:21]
	v_pk_add_f32 v[20:21], v[24:25], v[68:69] op_sel:[1,0] op_sel_hi:[0,1]
	v_pk_add_f32 v[20:21], v[20:21], v[22:23]
	v_add_f32_e32 v19, v63, v77
	v_add_f32_e32 v18, v18, v76
	v_add_lshl_u32 v32, v209, v212, 3
	v_pk_add_f32 v[22:23], v[16:17], v[20:21] neg_lo:[0,1] neg_hi:[0,1]
	v_pk_add_f32 v[16:17], v[16:17], v[20:21]
	v_pk_add_f32 v[28:29], v[30:31], v[78:79]
	ds_write2_b64 v32, v[16:17], v[18:19] offset1:10
	ds_write2_b64 v32, v[28:29], v[22:23] offset0:20 offset1:30
	ds_write2_b64 v32, v[56:57], v[58:59] offset0:40 offset1:50
.LBB0_11:
	s_or_b64 exec, exec, s[6:7]
	v_subrev_u32_e32 v16, 60, v90
	v_cmp_gt_u16_e32 vcc, 60, v90
	s_waitcnt lgkmcnt(0)
	s_barrier
	v_cndmask_b32_e32 v72, v16, v90, vcc
	v_mul_hi_i32_i24_e32 v17, 0x78, v72
	v_mul_i32_i24_e32 v16, 0x78, v72
	v_lshl_add_u64 v[60:61], s[0:1], 0, v[16:17]
	global_load_dwordx4 v[40:43], v[60:61], off offset:400
	global_load_dwordx4 v[36:39], v[60:61], off offset:416
	;; [unrolled: 1-line block ×7, first 2 shown]
	global_load_dwordx2 v[116:117], v[60:61], off offset:512
	ds_read2_b64 v[60:63], v207 offset0:120 offset1:240
	v_mov_b32_e32 v64, 0x3c0
	v_cmp_lt_u16_e32 vcc, 59, v90
	v_add_u32_e32 v83, 0x800, v207
	v_add_u32_e32 v155, 0x1000, v207
	v_cndmask_b32_e32 v91, 0, v64, vcc
	v_add_u32_e32 v160, 0x1800, v207
	v_add_u32_e32 v161, 0x2000, v207
	;; [unrolled: 1-line block ×4, first 2 shown]
	ds_read_b64 v[78:79], v208
	ds_read_b64 v[130:131], v207 offset:14400
	ds_read2_b64 v[64:67], v83 offset0:104 offset1:224
	ds_read2_b64 v[68:71], v155 offset0:88 offset1:208
	ds_read2_b64 v[74:77], v160 offset0:72 offset1:192
	ds_read2_b64 v[84:87], v161 offset0:56 offset1:176
	ds_read2_b64 v[122:125], v162 offset0:40 offset1:160
	ds_read2_b64 v[126:129], v163 offset0:24 offset1:144
	v_or_b32_e32 v72, v72, v91
	v_add_lshl_u32 v91, v209, v72, 3
	s_mov_b32 s12, 0x3f3504f3
	s_mov_b32 s18, 0x3f6c835e
	;; [unrolled: 1-line block ×3, first 2 shown]
	s_waitcnt lgkmcnt(0)
	s_barrier
	s_movk_i32 s6, 0x3000
	s_movk_i32 s7, 0x2000
	s_waitcnt vmcnt(7)
	v_pk_mul_f32 v[132:133], v[60:61], v[40:41] op_sel:[0,1]
	v_mov_b32_e32 v72, v43
	s_waitcnt vmcnt(6)
	v_pk_mul_f32 v[134:135], v[64:65], v[36:37] op_sel:[0,1]
	v_mov_b32_e32 v136, v39
	v_pk_fma_f32 v[156:157], v[60:61], v[40:41], v[132:133] op_sel:[0,0,1] op_sel_hi:[1,1,0] neg_lo:[0,0,1] neg_hi:[0,0,1]
	v_pk_fma_f32 v[60:61], v[60:61], v[40:41], v[132:133] op_sel:[0,0,1] op_sel_hi:[1,0,0]
	v_pk_mul_f32 v[132:133], v[62:63], v[72:73] op_sel_hi:[1,0]
	s_waitcnt vmcnt(2)
	v_mov_b32_e32 v154, v23
	v_pk_fma_f32 v[158:159], v[64:65], v[36:37], v[134:135] op_sel:[0,0,1] op_sel_hi:[1,1,0] neg_lo:[0,0,1] neg_hi:[0,0,1]
	v_pk_fma_f32 v[64:65], v[64:65], v[36:37], v[134:135] op_sel:[0,0,1] op_sel_hi:[1,0,0]
	v_pk_mul_f32 v[134:135], v[66:67], v[136:137] op_sel_hi:[1,0]
	v_mov_b32_e32 v157, v61
	v_pk_fma_f32 v[60:61], v[62:63], v[42:43], v[132:133] op_sel:[0,0,1] op_sel_hi:[1,1,0] neg_lo:[0,0,1] neg_hi:[0,0,1]
	v_pk_fma_f32 v[62:63], v[62:63], v[42:43], v[132:133] op_sel:[0,0,1] op_sel_hi:[1,0,0]
	v_pk_mul_f32 v[138:139], v[68:69], v[32:33] op_sel:[0,1]
	v_mov_b32_e32 v140, v35
	v_mov_b32_e32 v159, v65
	v_pk_fma_f32 v[64:65], v[66:67], v[38:39], v[134:135] op_sel:[0,0,1] op_sel_hi:[1,1,0] neg_lo:[0,0,1] neg_hi:[0,0,1]
	v_pk_fma_f32 v[66:67], v[66:67], v[38:39], v[134:135] op_sel:[0,0,1] op_sel_hi:[1,0,0]
	v_mov_b32_e32 v61, v63
	v_pk_mul_f32 v[62:63], v[124:125], v[154:155] op_sel_hi:[1,0]
	v_pk_fma_f32 v[136:137], v[68:69], v[32:33], v[138:139] op_sel:[0,0,1] op_sel_hi:[1,1,0] neg_lo:[0,0,1] neg_hi:[0,0,1]
	v_pk_fma_f32 v[68:69], v[68:69], v[32:33], v[138:139] op_sel:[0,0,1] op_sel_hi:[1,0,0]
	v_pk_mul_f32 v[138:139], v[70:71], v[140:141] op_sel_hi:[1,0]
	v_mov_b32_e32 v65, v67
	v_pk_fma_f32 v[66:67], v[124:125], v[22:23], v[62:63] op_sel:[0,0,1] op_sel_hi:[1,1,0] neg_lo:[0,0,1] neg_hi:[0,0,1]
	v_pk_fma_f32 v[62:63], v[124:125], v[22:23], v[62:63] op_sel:[0,0,1] op_sel_hi:[1,0,0]
	v_mov_b32_e32 v137, v69
	v_pk_fma_f32 v[68:69], v[70:71], v[34:35], v[138:139] op_sel:[0,0,1] op_sel_hi:[1,1,0] neg_lo:[0,0,1] neg_hi:[0,0,1]
	v_pk_fma_f32 v[70:71], v[70:71], v[34:35], v[138:139] op_sel:[0,0,1] op_sel_hi:[1,0,0]
	v_mov_b32_e32 v67, v63
	s_waitcnt vmcnt(1)
	v_pk_mul_f32 v[62:63], v[126:127], v[16:17] op_sel:[0,1]
	v_pk_mul_f32 v[142:143], v[74:75], v[24:25] op_sel:[0,1]
	v_mov_b32_e32 v144, v27
	v_mov_b32_e32 v69, v71
	v_pk_fma_f32 v[70:71], v[126:127], v[16:17], v[62:63] op_sel:[0,0,1] op_sel_hi:[1,1,0] neg_lo:[0,0,1] neg_hi:[0,0,1]
	v_pk_fma_f32 v[62:63], v[126:127], v[16:17], v[62:63] op_sel:[0,0,1] op_sel_hi:[1,0,0]
	v_pk_fma_f32 v[140:141], v[74:75], v[24:25], v[142:143] op_sel:[0,0,1] op_sel_hi:[1,1,0] neg_lo:[0,0,1] neg_hi:[0,0,1]
	v_pk_fma_f32 v[74:75], v[74:75], v[24:25], v[142:143] op_sel:[0,0,1] op_sel_hi:[1,0,0]
	v_pk_mul_f32 v[142:143], v[76:77], v[144:145] op_sel_hi:[1,0]
	v_mov_b32_e32 v62, v19
	v_pk_mul_f32 v[146:147], v[84:85], v[28:29] op_sel:[0,1]
	v_mov_b32_e32 v148, v31
	v_mov_b32_e32 v141, v75
	v_pk_fma_f32 v[74:75], v[76:77], v[26:27], v[142:143] op_sel:[0,0,1] op_sel_hi:[1,1,0] neg_lo:[0,0,1] neg_hi:[0,0,1]
	v_pk_fma_f32 v[76:77], v[76:77], v[26:27], v[142:143] op_sel:[0,0,1] op_sel_hi:[1,0,0]
	v_mov_b32_e32 v71, v63
	v_pk_mul_f32 v[62:63], v[128:129], v[62:63] op_sel_hi:[1,0]
	v_pk_fma_f32 v[144:145], v[84:85], v[28:29], v[146:147] op_sel:[0,0,1] op_sel_hi:[1,1,0] neg_lo:[0,0,1] neg_hi:[0,0,1]
	v_pk_fma_f32 v[84:85], v[84:85], v[28:29], v[146:147] op_sel:[0,0,1] op_sel_hi:[1,0,0]
	v_pk_mul_f32 v[146:147], v[86:87], v[148:149] op_sel_hi:[1,0]
	v_mov_b32_e32 v75, v77
	v_pk_fma_f32 v[76:77], v[128:129], v[18:19], v[62:63] op_sel:[0,0,1] op_sel_hi:[1,1,0] neg_lo:[0,0,1] neg_hi:[0,0,1]
	v_pk_fma_f32 v[62:63], v[128:129], v[18:19], v[62:63] op_sel:[0,0,1] op_sel_hi:[1,0,0]
	v_mov_b32_e32 v145, v85
	v_pk_fma_f32 v[84:85], v[86:87], v[30:31], v[146:147] op_sel:[0,0,1] op_sel_hi:[1,1,0] neg_lo:[0,0,1] neg_hi:[0,0,1]
	v_pk_fma_f32 v[86:87], v[86:87], v[30:31], v[146:147] op_sel:[0,0,1] op_sel_hi:[1,0,0]
	v_mov_b32_e32 v77, v63
	s_waitcnt vmcnt(0)
	v_pk_mul_f32 v[62:63], v[130:131], v[116:117] op_sel:[0,1]
	v_mov_b32_e32 v85, v87
	v_pk_fma_f32 v[86:87], v[130:131], v[116:117], v[62:63] op_sel:[0,0,1] op_sel_hi:[1,1,0] neg_lo:[0,0,1] neg_hi:[0,0,1]
	v_pk_fma_f32 v[62:63], v[130:131], v[116:117], v[62:63] op_sel:[0,0,1] op_sel_hi:[1,0,0]
	v_pk_add_f32 v[66:67], v[64:65], v[66:67] neg_lo:[0,1] neg_hi:[0,1]
	v_mov_b32_e32 v87, v63
	v_pk_add_f32 v[62:63], v[78:79], v[74:75] neg_lo:[0,1] neg_hi:[0,1]
	v_pk_fma_f32 v[64:65], v[64:65], 2.0, v[66:67] op_sel_hi:[1,0,1] neg_lo:[0,0,1] neg_hi:[0,0,1]
	v_pk_fma_f32 v[74:75], v[78:79], 2.0, v[62:63] op_sel_hi:[1,0,1] neg_lo:[0,0,1] neg_hi:[0,0,1]
	v_pk_add_f32 v[78:79], v[60:61], v[84:85] neg_lo:[0,1] neg_hi:[0,1]
	v_pk_add_f32 v[76:77], v[68:69], v[76:77] neg_lo:[0,1] neg_hi:[0,1]
	v_pk_add_f32 v[132:133], v[62:63], v[66:67] op_sel:[0,1] op_sel_hi:[1,0] neg_lo:[0,1] neg_hi:[0,1]
	v_pk_add_f32 v[66:67], v[62:63], v[66:67] op_sel:[0,1] op_sel_hi:[1,0]
	v_pk_mul_f32 v[152:153], v[122:123], v[20:21] op_sel:[0,1]
	v_pk_fma_f32 v[68:69], v[68:69], 2.0, v[76:77] op_sel_hi:[1,0,1] neg_lo:[0,0,1] neg_hi:[0,0,1]
	v_mov_b32_e32 v133, v67
	v_pk_add_f32 v[66:67], v[78:79], v[76:77] op_sel:[0,1] op_sel_hi:[1,0] neg_lo:[0,1] neg_hi:[0,1]
	v_pk_add_f32 v[76:77], v[78:79], v[76:77] op_sel:[0,1] op_sel_hi:[1,0]
	v_pk_fma_f32 v[148:149], v[122:123], v[20:21], v[152:153] op_sel:[0,0,1] op_sel_hi:[1,1,0] neg_lo:[0,0,1] neg_hi:[0,0,1]
	v_pk_fma_f32 v[122:123], v[122:123], v[20:21], v[152:153] op_sel:[0,0,1] op_sel_hi:[1,0,0]
	v_pk_add_f32 v[84:85], v[156:157], v[144:145] neg_lo:[0,1] neg_hi:[0,1]
	v_pk_add_f32 v[70:71], v[136:137], v[70:71] neg_lo:[0,1] neg_hi:[0,1]
	v_mov_b32_e32 v67, v77
	v_mov_b32_e32 v149, v123
	v_pk_fma_f32 v[60:61], v[60:61], 2.0, v[78:79] op_sel_hi:[1,0,1] neg_lo:[0,0,1] neg_hi:[0,0,1]
	v_pk_fma_f32 v[124:125], v[136:137], 2.0, v[70:71] op_sel_hi:[1,0,1] neg_lo:[0,0,1] neg_hi:[0,0,1]
	;; [unrolled: 1-line block ×3, first 2 shown]
	v_pk_add_f32 v[78:79], v[84:85], v[70:71] op_sel:[0,1] op_sel_hi:[1,0] neg_lo:[0,1] neg_hi:[0,1]
	v_pk_add_f32 v[70:71], v[84:85], v[70:71] op_sel:[0,1] op_sel_hi:[1,0]
	v_pk_add_f32 v[126:127], v[158:159], v[148:149] neg_lo:[0,1] neg_hi:[0,1]
	v_pk_add_f32 v[86:87], v[140:141], v[86:87] neg_lo:[0,1] neg_hi:[0,1]
	v_mov_b32_e32 v79, v71
	v_pk_fma_f32 v[122:123], v[156:157], 2.0, v[84:85] op_sel_hi:[1,0,1] neg_lo:[0,0,1] neg_hi:[0,0,1]
	v_pk_fma_f32 v[130:131], v[140:141], 2.0, v[86:87] op_sel_hi:[1,0,1] neg_lo:[0,0,1] neg_hi:[0,0,1]
	;; [unrolled: 1-line block ×3, first 2 shown]
	v_pk_add_f32 v[84:85], v[126:127], v[86:87] op_sel:[0,1] op_sel_hi:[1,0] neg_lo:[0,1] neg_hi:[0,1]
	v_pk_add_f32 v[86:87], v[126:127], v[86:87] op_sel:[0,1] op_sel_hi:[1,0]
	v_pk_fma_f32 v[62:63], v[62:63], 2.0, v[132:133] op_sel_hi:[1,0,1] neg_lo:[0,0,1] neg_hi:[0,0,1]
	v_mov_b32_e32 v85, v87
	v_pk_fma_f32 v[128:129], v[158:159], 2.0, v[126:127] op_sel_hi:[1,0,1] neg_lo:[0,0,1] neg_hi:[0,0,1]
	v_pk_fma_f32 v[86:87], v[126:127], 2.0, v[84:85] op_sel_hi:[1,0,1] neg_lo:[0,0,1] neg_hi:[0,0,1]
	v_pk_mul_f32 v[126:127], v[76:77], s[12:13] op_sel_hi:[1,0]
	v_pk_fma_f32 v[76:77], v[76:77], s[12:13], v[62:63] op_sel_hi:[1,0,1] neg_lo:[1,0,0] neg_hi:[1,0,0]
	v_pk_add_f32 v[64:65], v[74:75], v[64:65] neg_lo:[0,1] neg_hi:[0,1]
	v_pk_add_f32 v[134:135], v[76:77], v[126:127] op_sel:[0,1] op_sel_hi:[1,0] neg_lo:[0,1] neg_hi:[0,1]
	v_pk_add_f32 v[76:77], v[76:77], v[126:127] op_sel:[0,1] op_sel_hi:[1,0]
	v_pk_mul_f32 v[126:127], v[86:87], s[12:13] op_sel_hi:[1,0]
	v_pk_fma_f32 v[86:87], v[86:87], s[12:13], v[70:71] op_sel_hi:[1,0,1] neg_lo:[1,0,0] neg_hi:[1,0,0]
	v_pk_add_f32 v[68:69], v[60:61], v[68:69] neg_lo:[0,1] neg_hi:[0,1]
	v_pk_add_f32 v[136:137], v[86:87], v[126:127] op_sel:[0,1] op_sel_hi:[1,0] neg_lo:[0,1] neg_hi:[0,1]
	v_pk_add_f32 v[86:87], v[86:87], v[126:127] op_sel:[0,1] op_sel_hi:[1,0]
	v_pk_add_f32 v[124:125], v[122:123], v[124:125] neg_lo:[0,1] neg_hi:[0,1]
	v_pk_add_f32 v[130:131], v[128:129], v[130:131] neg_lo:[0,1] neg_hi:[0,1]
	v_mov_b32_e32 v135, v77
	v_mov_b32_e32 v137, v87
	v_pk_fma_f32 v[74:75], v[74:75], 2.0, v[64:65] op_sel_hi:[1,0,1] neg_lo:[0,0,1] neg_hi:[0,0,1]
	v_pk_fma_f32 v[60:61], v[60:61], 2.0, v[68:69] op_sel_hi:[1,0,1] neg_lo:[0,0,1] neg_hi:[0,0,1]
	v_pk_fma_f32 v[122:123], v[122:123], 2.0, v[124:125] op_sel_hi:[1,0,1] neg_lo:[0,0,1] neg_hi:[0,0,1]
	v_pk_fma_f32 v[128:129], v[128:129], 2.0, v[130:131] op_sel_hi:[1,0,1] neg_lo:[0,0,1] neg_hi:[0,0,1]
	v_pk_fma_f32 v[62:63], v[62:63], 2.0, v[134:135] op_sel_hi:[1,0,1] neg_lo:[0,0,1] neg_hi:[0,0,1]
	v_pk_fma_f32 v[70:71], v[70:71], 2.0, v[136:137] op_sel_hi:[1,0,1] neg_lo:[0,0,1] neg_hi:[0,0,1]
	v_pk_add_f32 v[60:61], v[74:75], v[60:61] neg_lo:[0,1] neg_hi:[0,1]
	v_pk_add_f32 v[128:129], v[122:123], v[128:129] neg_lo:[0,1] neg_hi:[0,1]
	v_pk_fma_f32 v[126:127], v[70:71], s[18:19], v[62:63] op_sel_hi:[1,0,1] neg_lo:[1,0,0] neg_hi:[1,0,0]
	v_pk_mul_f32 v[70:71], v[70:71], s[20:21] op_sel_hi:[1,0]
	v_pk_fma_f32 v[74:75], v[74:75], 2.0, v[60:61] op_sel_hi:[1,0,1] neg_lo:[0,0,1] neg_hi:[0,0,1]
	v_pk_fma_f32 v[122:123], v[122:123], 2.0, v[128:129] op_sel_hi:[1,0,1] neg_lo:[0,0,1] neg_hi:[0,0,1]
	v_pk_add_f32 v[138:139], v[126:127], v[70:71] op_sel:[0,1] op_sel_hi:[1,0] neg_lo:[0,1] neg_hi:[0,1]
	v_pk_add_f32 v[70:71], v[126:127], v[70:71] op_sel:[0,1] op_sel_hi:[1,0]
	v_pk_add_f32 v[122:123], v[74:75], v[122:123] neg_lo:[0,1] neg_hi:[0,1]
	v_mov_b32_e32 v139, v71
	v_pk_fma_f32 v[74:75], v[74:75], 2.0, v[122:123] op_sel_hi:[1,0,1] neg_lo:[0,0,1] neg_hi:[0,0,1]
	v_pk_fma_f32 v[62:63], v[62:63], 2.0, v[138:139] op_sel_hi:[1,0,1] neg_lo:[0,0,1] neg_hi:[0,0,1]
	ds_write2_b64 v91, v[74:75], v[62:63] offset1:60
	v_pk_add_f32 v[62:63], v[64:65], v[68:69] op_sel:[0,1] op_sel_hi:[1,0] neg_lo:[0,1] neg_hi:[0,1]
	v_pk_add_f32 v[68:69], v[64:65], v[68:69] op_sel:[0,1] op_sel_hi:[1,0]
	v_pk_add_f32 v[74:75], v[124:125], v[130:131] op_sel:[0,1] op_sel_hi:[1,0]
	v_mov_b32_e32 v63, v69
	v_pk_add_f32 v[68:69], v[124:125], v[130:131] op_sel:[0,1] op_sel_hi:[1,0] neg_lo:[0,1] neg_hi:[0,1]
	v_fmamk_f32 v70, v136, 0x3ec3ef15, v134
	v_mov_b32_e32 v69, v75
	v_pk_fma_f32 v[64:65], v[64:65], 2.0, v[62:63] op_sel_hi:[1,0,1] neg_lo:[0,0,1] neg_hi:[0,0,1]
	v_pk_fma_f32 v[74:75], v[124:125], 2.0, v[68:69] op_sel_hi:[1,0,1] neg_lo:[0,0,1] neg_hi:[0,0,1]
	v_fmamk_f32 v71, v87, 0x3ec3ef15, v77
	v_fmamk_f32 v70, v87, 0xbf6c835e, v70
	v_pk_mul_f32 v[86:87], v[74:75], s[12:13] op_sel_hi:[1,0]
	v_pk_fma_f32 v[74:75], v[74:75], s[12:13], v[64:65] op_sel_hi:[1,0,1] neg_lo:[1,0,0] neg_hi:[1,0,0]
	v_pk_mul_f32 v[126:127], v[84:85], s[12:13] op_sel_hi:[1,0]
	v_pk_add_f32 v[124:125], v[74:75], v[86:87] op_sel:[0,1] op_sel_hi:[1,0] neg_lo:[0,1] neg_hi:[0,1]
	v_pk_add_f32 v[74:75], v[74:75], v[86:87] op_sel:[0,1] op_sel_hi:[1,0]
	v_pk_fma_f32 v[84:85], v[84:85], s[12:13], v[78:79] op_sel_hi:[1,0,1]
	v_mov_b32_e32 v125, v75
	v_pk_mul_f32 v[74:75], v[66:67], s[12:13] op_sel_hi:[1,0]
	v_pk_fma_f32 v[66:67], v[66:67], s[12:13], v[132:133] op_sel_hi:[1,0,1]
	v_pk_add_f32 v[130:131], v[84:85], v[126:127] op_sel:[0,1] op_sel_hi:[1,0] neg_lo:[0,1] neg_hi:[0,1]
	v_pk_add_f32 v[86:87], v[66:67], v[74:75] op_sel:[0,1] op_sel_hi:[1,0] neg_lo:[0,1] neg_hi:[0,1]
	v_pk_add_f32 v[66:67], v[66:67], v[74:75] op_sel:[0,1] op_sel_hi:[1,0]
	v_pk_add_f32 v[84:85], v[84:85], v[126:127] op_sel:[0,1] op_sel_hi:[1,0]
	v_mov_b32_e32 v87, v67
	v_mov_b32_e32 v131, v85
	v_pk_fma_f32 v[74:75], v[132:133], 2.0, v[86:87] op_sel_hi:[1,0,1] neg_lo:[0,0,1] neg_hi:[0,0,1]
	v_pk_fma_f32 v[78:79], v[78:79], 2.0, v[130:131] op_sel_hi:[1,0,1] neg_lo:[0,0,1] neg_hi:[0,0,1]
	;; [unrolled: 1-line block ×3, first 2 shown]
	v_pk_fma_f32 v[126:127], v[78:79], s[20:21], v[74:75] op_sel_hi:[1,0,1] neg_lo:[1,0,0] neg_hi:[1,0,0]
	v_pk_mul_f32 v[78:79], v[78:79], s[18:19] op_sel_hi:[1,0]
	v_fmac_f32_e32 v71, 0x3f6c835e, v136
	v_pk_add_f32 v[132:133], v[126:127], v[78:79] op_sel:[0,1] op_sel_hi:[1,0] neg_lo:[0,1] neg_hi:[0,1]
	v_pk_add_f32 v[78:79], v[126:127], v[78:79] op_sel:[0,1] op_sel_hi:[1,0]
	v_fma_f32 v76, v134, 2.0, -v70
	v_mov_b32_e32 v133, v79
	v_pk_fma_f32 v[74:75], v[74:75], 2.0, v[132:133] op_sel_hi:[1,0,1] neg_lo:[0,0,1] neg_hi:[0,0,1]
	ds_write2_b64 v91, v[64:65], v[74:75] offset0:120 offset1:180
	v_pk_add_f32 v[64:65], v[60:61], v[128:129] op_sel:[0,1] op_sel_hi:[1,0] neg_lo:[0,1] neg_hi:[0,1]
	v_pk_add_f32 v[74:75], v[60:61], v[128:129] op_sel:[0,1] op_sel_hi:[1,0]
	v_fma_f32 v77, v77, 2.0, -v71
	v_mov_b32_e32 v65, v75
	v_pk_fma_f32 v[60:61], v[60:61], 2.0, v[64:65] op_sel_hi:[1,0,1] neg_lo:[0,0,1] neg_hi:[0,0,1]
	v_add_u32_e32 v72, 0x400, v91
	ds_write2_b64 v72, v[60:61], v[76:77] offset0:112 offset1:172
	v_pk_mul_f32 v[60:61], v[68:69], s[12:13] op_sel_hi:[1,0]
	v_pk_fma_f32 v[68:69], v[68:69], s[12:13], v[62:63] op_sel_hi:[1,0,1]
	v_fmamk_f32 v66, v130, 0x3f6c835e, v86
	v_fmamk_f32 v79, v85, 0x3f6c835e, v67
	v_pk_add_f32 v[74:75], v[68:69], v[60:61] op_sel:[0,1] op_sel_hi:[1,0] neg_lo:[0,1] neg_hi:[0,1]
	v_pk_add_f32 v[60:61], v[68:69], v[60:61] op_sel:[0,1] op_sel_hi:[1,0]
	v_fmamk_f32 v78, v85, 0xbec3ef15, v66
	v_fmac_f32_e32 v79, 0x3ec3ef15, v130
	v_mov_b32_e32 v75, v61
	v_fma_f32 v66, v86, 2.0, -v78
	v_fma_f32 v67, v67, 2.0, -v79
	v_pk_fma_f32 v[60:61], v[62:63], 2.0, v[74:75] op_sel_hi:[1,0,1] neg_lo:[0,0,1] neg_hi:[0,0,1]
	v_add_u32_e32 v62, 0x800, v91
	ds_write2_b64 v62, v[60:61], v[66:67] offset0:104 offset1:164
	v_add_u32_e32 v60, 0xc00, v91
	ds_write2_b64 v60, v[122:123], v[138:139] offset0:96 offset1:156
	;; [unrolled: 2-line block ×4, first 2 shown]
	v_add_u32_e32 v60, 0x1800, v91
	v_lshlrev_b32_e32 v72, 3, v90
	ds_write2_b64 v60, v[74:75], v[78:79] offset0:72 offset1:132
	v_lshl_add_u64 v[60:61], s[0:1], 0, v[72:73]
	v_add_co_u32_e32 v62, vcc, s6, v60
	s_waitcnt lgkmcnt(0)
	s_nop 0
	v_addc_co_u32_e32 v63, vcc, 0, v61, vcc
	s_barrier
	global_load_dwordx2 v[122:123], v[62:63], off offset:112
	global_load_dwordx2 v[128:129], v[62:63], off offset:1072
	;; [unrolled: 1-line block ×3, first 2 shown]
	v_add_co_u32_e32 v62, vcc, s7, v60
	s_movk_i32 s12, 0x1000
	s_nop 0
	v_addc_co_u32_e32 v63, vcc, 0, v61, vcc
	global_load_dwordx2 v[134:135], v[62:63], off offset:368
	global_load_dwordx2 v[132:133], v[62:63], off offset:1328
	;; [unrolled: 1-line block ×4, first 2 shown]
	v_add_co_u32_e32 v60, vcc, s12, v60
	s_add_u32 s0, s16, 0x3c00
	s_nop 0
	v_addc_co_u32_e32 v61, vcc, 0, v61, vcc
	global_load_dwordx2 v[136:137], v[60:61], off offset:3504
	ds_read2_b64 v[60:63], v163 offset0:24 offset1:144
	ds_read2_b64 v[74:77], v155 offset0:88 offset1:208
	;; [unrolled: 1-line block ×3, first 2 shown]
	ds_read_b64 v[78:79], v208
	ds_read2_b64 v[138:141], v161 offset0:56 offset1:176
	s_addc_u32 s1, s17, 0
	s_waitcnt vmcnt(7) lgkmcnt(4)
	v_pk_mul_f32 v[64:65], v[60:61], v[122:123] op_sel:[0,1]
	s_nop 0
	v_pk_fma_f32 v[66:67], v[60:61], v[122:123], v[64:65] op_sel:[0,0,1] op_sel_hi:[1,1,0] neg_lo:[0,0,1] neg_hi:[0,0,1]
	v_pk_fma_f32 v[60:61], v[60:61], v[122:123], v[64:65] op_sel:[0,0,1] op_sel_hi:[1,0,0]
	ds_read_b64 v[64:65], v207 offset:14400
	v_mov_b32_e32 v67, v61
	s_waitcnt vmcnt(6)
	v_pk_mul_f32 v[60:61], v[62:63], v[128:129] op_sel:[0,1]
	s_nop 0
	v_pk_fma_f32 v[68:69], v[62:63], v[128:129], v[60:61] op_sel:[0,0,1] op_sel_hi:[1,1,0] neg_lo:[0,0,1] neg_hi:[0,0,1]
	v_pk_fma_f32 v[60:61], v[62:63], v[128:129], v[60:61] op_sel:[0,0,1] op_sel_hi:[1,0,0]
	s_nop 0
	v_mov_b32_e32 v69, v61
	s_waitcnt vmcnt(5) lgkmcnt(0)
	v_pk_mul_f32 v[60:61], v[64:65], v[124:125] op_sel:[0,1]
	v_pk_add_f32 v[68:69], v[76:77], v[68:69] neg_lo:[0,1] neg_hi:[0,1]
	v_pk_fma_f32 v[62:63], v[64:65], v[124:125], v[60:61] op_sel:[0,0,1] op_sel_hi:[1,1,0] neg_lo:[0,0,1] neg_hi:[0,0,1]
	v_pk_fma_f32 v[60:61], v[64:65], v[124:125], v[60:61] op_sel:[0,0,1] op_sel_hi:[1,0,0]
	s_nop 0
	v_mov_b32_e32 v63, v61
	v_pk_add_f32 v[60:61], v[74:75], v[66:67] neg_lo:[0,1] neg_hi:[0,1]
	v_pk_add_f32 v[66:67], v[84:85], v[62:63] neg_lo:[0,1] neg_hi:[0,1]
	v_pk_fma_f32 v[64:65], v[74:75], 2.0, v[60:61] op_sel_hi:[1,0,1] neg_lo:[0,0,1] neg_hi:[0,0,1]
	v_pk_fma_f32 v[62:63], v[76:77], 2.0, v[68:69] op_sel_hi:[1,0,1] neg_lo:[0,0,1] neg_hi:[0,0,1]
	ds_read2_b64 v[74:77], v207 offset0:120 offset1:240
	v_pk_fma_f32 v[70:71], v[84:85], 2.0, v[66:67] op_sel_hi:[1,0,1] neg_lo:[0,0,1] neg_hi:[0,0,1]
	s_waitcnt vmcnt(4)
	v_pk_mul_f32 v[84:85], v[138:139], v[134:135] op_sel:[0,1]
	s_nop 0
	v_pk_fma_f32 v[142:143], v[138:139], v[134:135], v[84:85] op_sel:[0,0,1] op_sel_hi:[1,1,0] neg_lo:[0,0,1] neg_hi:[0,0,1]
	v_pk_fma_f32 v[84:85], v[138:139], v[134:135], v[84:85] op_sel:[0,0,1] op_sel_hi:[1,0,0]
	s_nop 0
	v_mov_b32_e32 v143, v85
	s_waitcnt lgkmcnt(0)
	v_pk_add_f32 v[84:85], v[74:75], v[142:143] neg_lo:[0,1] neg_hi:[0,1]
	s_nop 0
	v_pk_fma_f32 v[142:143], v[74:75], 2.0, v[84:85] op_sel_hi:[1,0,1] neg_lo:[0,0,1] neg_hi:[0,0,1]
	s_waitcnt vmcnt(3)
	v_pk_mul_f32 v[74:75], v[140:141], v[132:133] op_sel:[0,1]
	s_nop 0
	v_pk_fma_f32 v[144:145], v[140:141], v[132:133], v[74:75] op_sel:[0,0,1] op_sel_hi:[1,1,0] neg_lo:[0,0,1] neg_hi:[0,0,1]
	v_pk_fma_f32 v[74:75], v[140:141], v[132:133], v[74:75] op_sel:[0,0,1] op_sel_hi:[1,0,0]
	ds_read2_b64 v[138:141], v162 offset0:40 offset1:160
	v_mov_b32_e32 v145, v75
	v_pk_add_f32 v[144:145], v[76:77], v[144:145] neg_lo:[0,1] neg_hi:[0,1]
	s_waitcnt vmcnt(2) lgkmcnt(0)
	v_pk_mul_f32 v[148:149], v[140:141], v[130:131] op_sel:[0,1]
	v_pk_fma_f32 v[146:147], v[76:77], 2.0, v[144:145] op_sel_hi:[1,0,1] neg_lo:[0,0,1] neg_hi:[0,0,1]
	ds_read2_b64 v[74:77], v83 offset0:104 offset1:224
	v_pk_fma_f32 v[152:153], v[140:141], v[130:131], v[148:149] op_sel:[0,0,1] op_sel_hi:[1,1,0] neg_lo:[0,0,1] neg_hi:[0,0,1]
	v_pk_fma_f32 v[140:141], v[140:141], v[130:131], v[148:149] op_sel:[0,0,1] op_sel_hi:[1,0,0]
	s_waitcnt vmcnt(1)
	v_pk_mul_f32 v[148:149], v[138:139], v[126:127] op_sel:[0,1]
	v_mov_b32_e32 v153, v141
	s_waitcnt lgkmcnt(0)
	v_pk_add_f32 v[140:141], v[76:77], v[152:153] neg_lo:[0,1] neg_hi:[0,1]
	v_pk_fma_f32 v[152:153], v[138:139], v[126:127], v[148:149] op_sel:[0,0,1] op_sel_hi:[1,1,0] neg_lo:[0,0,1] neg_hi:[0,0,1]
	v_pk_fma_f32 v[138:139], v[138:139], v[126:127], v[148:149] op_sel:[0,0,1] op_sel_hi:[1,0,0]
	s_waitcnt vmcnt(0)
	v_pk_mul_f32 v[148:149], v[86:87], v[136:137] op_sel:[0,1]
	v_mov_b32_e32 v153, v139
	v_pk_add_f32 v[138:139], v[74:75], v[152:153] neg_lo:[0,1] neg_hi:[0,1]
	v_pk_fma_f32 v[152:153], v[86:87], v[136:137], v[148:149] op_sel:[0,0,1] op_sel_hi:[1,1,0] neg_lo:[0,0,1] neg_hi:[0,0,1]
	v_pk_fma_f32 v[86:87], v[86:87], v[136:137], v[148:149] op_sel:[0,0,1] op_sel_hi:[1,0,0]
	v_pk_fma_f32 v[76:77], v[76:77], 2.0, v[140:141] op_sel_hi:[1,0,1] neg_lo:[0,0,1] neg_hi:[0,0,1]
	v_mov_b32_e32 v153, v87
	v_pk_add_f32 v[86:87], v[78:79], v[152:153] neg_lo:[0,1] neg_hi:[0,1]
	v_pk_fma_f32 v[74:75], v[74:75], 2.0, v[138:139] op_sel_hi:[1,0,1] neg_lo:[0,0,1] neg_hi:[0,0,1]
	v_pk_fma_f32 v[78:79], v[78:79], 2.0, v[86:87] op_sel_hi:[1,0,1] neg_lo:[0,0,1] neg_hi:[0,0,1]
	ds_write_b64 v208, v[78:79]
	ds_write2_b64 v207, v[142:143], v[146:147] offset0:120 offset1:240
	ds_write2_b64 v161, v[84:85], v[144:145] offset0:56 offset1:176
	;; [unrolled: 1-line block ×3, first 2 shown]
	v_add_u32_e32 v74, 0x2900, v207
	ds_write2_b64 v74, v[138:139], v[60:61] offset0:8 offset1:248
	ds_write2_b64 v155, v[64:65], v[62:63] offset0:88 offset1:208
	v_add_u32_e32 v74, 0x2d00, v207
	ds_write2_b64 v74, v[140:141], v[68:69] offset1:240
	ds_write2_b64 v160, v[70:71], v[86:87] offset0:72 offset1:192
	ds_write_b64 v207, v[66:67] offset:14400
	s_waitcnt lgkmcnt(0)
	s_barrier
	global_load_dwordx2 v[78:79], v72, s[0:1]
	global_load_dwordx2 v[84:85], v72, s[0:1] offset:1536
	global_load_dwordx2 v[86:87], v72, s[0:1] offset:3072
	v_lshl_add_u64 v[72:73], s[0:1], 0, v[72:73]
	v_add_co_u32_e32 v74, vcc, s12, v72
	s_nop 1
	v_addc_co_u32_e32 v75, vcc, 0, v73, vcc
	global_load_dwordx2 v[138:139], v[74:75], off offset:512
	global_load_dwordx2 v[140:141], v80, s[0:1]
	global_load_dwordx2 v[142:143], v[74:75], off offset:3584
	global_load_dwordx2 v[144:145], v81, s[0:1]
	v_add_co_u32_e32 v76, vcc, s7, v72
	s_nop 1
	v_addc_co_u32_e32 v77, vcc, 0, v73, vcc
	global_load_dwordx2 v[146:147], v[76:77], off offset:2560
	global_load_dwordx2 v[148:149], v82, s[0:1]
	v_add_co_u32_e32 v80, vcc, 0x3000, v72
	s_nop 1
	v_addc_co_u32_e32 v81, vcc, 0, v73, vcc
	global_load_dwordx2 v[152:153], v[80:81], off offset:1536
	ds_read_b64 v[80:81], v208
	s_waitcnt vmcnt(9) lgkmcnt(0)
	v_mul_f32_e32 v82, v81, v79
	v_mul_f32_e32 v83, v80, v79
	v_fma_f32 v82, v80, v78, -v82
	v_fmac_f32_e32 v83, v81, v78
	ds_write_b64 v208, v[82:83]
	ds_read2st64_b64 v[78:81], v207 offset0:3 offset1:6
	s_waitcnt vmcnt(8) lgkmcnt(0)
	v_mul_f32_e32 v82, v79, v85
	v_mul_f32_e32 v155, v78, v85
	v_fma_f32 v154, v78, v84, -v82
	v_fmac_f32_e32 v155, v79, v84
	ds_read2st64_b64 v[82:85], v207 offset0:9 offset1:12
	s_waitcnt vmcnt(7)
	v_mul_f32_e32 v78, v81, v87
	v_mul_f32_e32 v79, v80, v87
	v_fma_f32 v78, v80, v86, -v78
	v_fmac_f32_e32 v79, v81, v86
	ds_write2st64_b64 v207, v[154:155], v[78:79] offset0:3 offset1:6
	s_waitcnt vmcnt(6) lgkmcnt(1)
	v_mul_f32_e32 v78, v83, v139
	v_fma_f32 v86, v82, v138, -v78
	ds_read2st64_b64 v[78:81], v207 offset0:15 offset1:18
	v_mul_f32_e32 v87, v82, v139
	v_fmac_f32_e32 v87, v83, v138
	s_waitcnt vmcnt(5)
	v_mul_f32_e32 v82, v85, v141
	v_mul_f32_e32 v83, v84, v141
	v_fma_f32 v82, v84, v140, -v82
	v_fmac_f32_e32 v83, v85, v140
	ds_write2st64_b64 v207, v[86:87], v[82:83] offset0:9 offset1:12
	s_waitcnt vmcnt(4) lgkmcnt(1)
	v_mul_f32_e32 v82, v79, v143
	v_fma_f32 v86, v78, v142, -v82
	ds_read2st64_b64 v[82:85], v207 offset0:21 offset1:24
	v_mul_f32_e32 v87, v78, v143
	v_fmac_f32_e32 v87, v79, v142
	s_waitcnt vmcnt(3)
	v_mul_f32_e32 v78, v81, v145
	v_mul_f32_e32 v79, v80, v145
	v_fma_f32 v78, v80, v144, -v78
	v_fmac_f32_e32 v79, v81, v144
	ds_read_b64 v[80:81], v207 offset:13824
	ds_write2st64_b64 v207, v[86:87], v[78:79] offset0:15 offset1:18
	s_waitcnt vmcnt(2) lgkmcnt(2)
	v_mul_f32_e32 v78, v83, v147
	v_mul_f32_e32 v79, v82, v147
	v_fma_f32 v78, v82, v146, -v78
	v_fmac_f32_e32 v79, v83, v146
	s_waitcnt vmcnt(1)
	v_mul_f32_e32 v82, v85, v149
	v_mul_f32_e32 v83, v84, v149
	v_fma_f32 v82, v84, v148, -v82
	v_fmac_f32_e32 v83, v85, v148
	ds_write2st64_b64 v207, v[78:79], v[82:83] offset0:21 offset1:24
	s_waitcnt vmcnt(0) lgkmcnt(2)
	v_mul_f32_e32 v78, v81, v153
	v_mul_f32_e32 v79, v80, v153
	v_fma_f32 v78, v80, v152, -v78
	v_fmac_f32_e32 v79, v81, v152
	ds_write_b64 v207, v[78:79] offset:13824
	s_and_saveexec_b64 s[0:1], s[4:5]
	s_cbranch_execz .LBB0_13
; %bb.12:
	global_load_dwordx2 v[82:83], v[72:73], off offset:960
	v_add_u32_e32 v86, 0x1c0, v207
	ds_read2st64_b64 v[78:81], v86 offset0:1 offset1:4
	s_waitcnt vmcnt(0) lgkmcnt(0)
	v_mul_f32_e32 v84, v79, v83
	v_mul_f32_e32 v85, v78, v83
	v_fma_f32 v84, v78, v82, -v84
	v_fmac_f32_e32 v85, v79, v82
	global_load_dwordx2 v[78:79], v[72:73], off offset:2496
	s_waitcnt vmcnt(0)
	v_mul_f32_e32 v82, v81, v79
	v_mul_f32_e32 v83, v80, v79
	v_fma_f32 v82, v80, v78, -v82
	v_fmac_f32_e32 v83, v81, v78
	ds_write2st64_b64 v86, v[84:85], v[82:83] offset0:1 offset1:4
	global_load_dwordx2 v[82:83], v[72:73], off offset:4032
	ds_read2st64_b64 v[78:81], v86 offset0:7 offset1:10
	v_add_co_u32_e32 v72, vcc, s6, v72
	s_waitcnt vmcnt(0) lgkmcnt(0)
	v_mul_f32_e32 v84, v79, v83
	v_mul_f32_e32 v85, v78, v83
	v_fma_f32 v84, v78, v82, -v84
	v_fmac_f32_e32 v85, v79, v82
	global_load_dwordx2 v[78:79], v[74:75], off offset:1472
	v_addc_co_u32_e32 v73, vcc, 0, v73, vcc
	global_load_dwordx2 v[74:75], v[74:75], off offset:3008
	s_waitcnt vmcnt(1)
	v_mul_f32_e32 v82, v81, v79
	v_mul_f32_e32 v83, v80, v79
	v_fma_f32 v82, v80, v78, -v82
	v_fmac_f32_e32 v83, v81, v78
	ds_read2st64_b64 v[78:81], v86 offset0:13 offset1:16
	ds_write2st64_b64 v86, v[84:85], v[82:83] offset0:7 offset1:10
	s_waitcnt vmcnt(0) lgkmcnt(1)
	v_mul_f32_e32 v82, v79, v75
	v_mul_f32_e32 v83, v78, v75
	v_fma_f32 v82, v78, v74, -v82
	v_fmac_f32_e32 v83, v79, v74
	global_load_dwordx2 v[74:75], v[76:77], off offset:448
	s_waitcnt vmcnt(0)
	v_mul_f32_e32 v78, v81, v75
	v_mul_f32_e32 v79, v80, v75
	v_fma_f32 v78, v80, v74, -v78
	v_fmac_f32_e32 v79, v81, v74
	global_load_dwordx2 v[74:75], v[76:77], off offset:1984
	ds_write2st64_b64 v86, v[82:83], v[78:79] offset0:13 offset1:16
	ds_read2st64_b64 v[78:81], v86 offset0:19 offset1:22
	s_waitcnt vmcnt(0) lgkmcnt(0)
	v_mul_f32_e32 v82, v79, v75
	v_mul_f32_e32 v83, v78, v75
	v_fma_f32 v82, v78, v74, -v82
	v_fmac_f32_e32 v83, v79, v74
	global_load_dwordx2 v[74:75], v[76:77], off offset:3520
	global_load_dwordx2 v[78:79], v[72:73], off offset:960
	s_waitcnt vmcnt(1)
	v_mul_f32_e32 v76, v81, v75
	global_load_dwordx2 v[72:73], v[72:73], off offset:2496
	v_mul_f32_e32 v77, v80, v75
	v_fma_f32 v76, v80, v74, -v76
	v_fmac_f32_e32 v77, v81, v74
	ds_write2st64_b64 v86, v[82:83], v[76:77] offset0:19 offset1:22
	ds_read2st64_b64 v[74:77], v86 offset0:25 offset1:28
	s_waitcnt vmcnt(1) lgkmcnt(0)
	v_mul_f32_e32 v80, v75, v79
	v_mul_f32_e32 v81, v74, v79
	v_fma_f32 v80, v74, v78, -v80
	v_fmac_f32_e32 v81, v75, v78
	s_waitcnt vmcnt(0)
	v_mul_f32_e32 v74, v77, v73
	v_mul_f32_e32 v75, v76, v73
	v_fma_f32 v74, v76, v72, -v74
	v_fmac_f32_e32 v75, v77, v72
	ds_write2st64_b64 v86, v[80:81], v[74:75] offset0:25 offset1:28
.LBB0_13:
	s_or_b64 exec, exec, s[0:1]
	s_waitcnt lgkmcnt(0)
	s_barrier
	ds_read2st64_b64 v[72:75], v207 offset0:3 offset1:6
	ds_read2st64_b64 v[76:79], v207 offset0:9 offset1:12
	;; [unrolled: 1-line block ×4, first 2 shown]
	ds_read_b64 v[138:139], v208
	ds_read_b64 v[140:141], v207 offset:13824
	s_and_saveexec_b64 s[0:1], s[4:5]
	s_cbranch_execz .LBB0_15
; %bb.14:
	v_lshlrev_b32_e32 v52, 3, v209
	v_lshl_add_u32 v52, v90, 3, v52
	v_add_u32_e32 v53, 0x1c0, v207
	v_add_u32_e32 v52, 0x1c0, v52
	ds_read2st64_b64 v[64:67], v53 offset0:1 offset1:16
	ds_read2st64_b64 v[60:63], v52 offset0:4 offset1:7
	;; [unrolled: 1-line block ×5, first 2 shown]
.LBB0_15:
	s_or_b64 exec, exec, s[0:1]
	s_waitcnt lgkmcnt(3)
	v_mov_b32_e32 v144, v80
	s_waitcnt lgkmcnt(2)
	v_mov_b32_e32 v145, v84
	v_mov_b32_e32 v146, v76
	s_waitcnt lgkmcnt(0)
	v_mov_b32_e32 v147, v140
	v_pk_add_f32 v[142:143], v[76:77], v[140:141]
	v_pk_add_f32 v[144:145], v[144:145], v[146:147] neg_lo:[0,1] neg_hi:[0,1]
	v_fma_f32 v184, -0.5, v142, v72
	v_mov_b32_e32 v142, v145
	v_pk_add_f32 v[156:157], v[144:145], v[142:143]
	v_fma_f32 v185, -0.5, v143, v73
	v_mov_b32_e32 v142, v81
	v_mov_b32_e32 v143, v85
	;; [unrolled: 1-line block ×4, first 2 shown]
	v_pk_add_f32 v[142:143], v[142:143], v[144:145] neg_lo:[0,1] neg_hi:[0,1]
	v_mov_b32_e32 v172, v58
	v_mov_b32_e32 v144, v143
	v_pk_add_f32 v[158:159], v[142:143], v[144:145]
	v_mov_b32_e32 v142, v54
	v_mov_b32_e32 v143, v68
	;; [unrolled: 1-line block ×3, first 2 shown]
	v_pk_add_f32 v[166:167], v[66:67], v[58:59]
	v_pk_add_f32 v[174:175], v[142:143], v[172:173] neg_lo:[0,1] neg_hi:[0,1]
	v_fma_f32 v157, -0.5, v166, v60
	v_mov_b32_e32 v166, v175
	v_pk_add_f32 v[170:171], v[66:67], v[58:59] neg_lo:[0,1] neg_hi:[0,1]
	v_pk_add_f32 v[174:175], v[174:175], v[166:167]
	s_mov_b32 s0, 0x3e9e377a
	v_pk_add_f32 v[176:177], v[54:55], v[68:69]
	v_pk_add_f32 v[142:143], v[172:173], v[142:143] neg_lo:[0,1] neg_hi:[0,1]
	v_pk_add_f32 v[144:145], v[68:69], v[60:61]
	v_pk_add_f32 v[168:169], v[68:69], v[54:55] neg_lo:[0,1] neg_hi:[0,1]
	v_mov_b32_e32 v175, v171
	s_mov_b32 s1, 0x3f167918
	v_fma_f32 v68, -0.5, v176, v60
	v_mov_b32_e32 v60, v143
	v_fmamk_f32 v159, v169, 0xbf737871, v157
	v_pk_mul_f32 v[174:175], v[174:175], s[0:1]
	v_fmac_f32_e32 v157, 0x3f737871, v169
	v_pk_add_f32 v[142:143], v[142:143], v[60:61]
	v_sub_f32_e32 v159, v159, v175
	v_add_f32_e32 v157, v175, v157
	v_mov_b32_e32 v143, v169
	v_add_f32_e32 v166, v174, v159
	v_add_f32_e32 v174, v174, v157
	v_fmamk_f32 v157, v171, 0x3f737871, v68
	v_pk_mul_f32 v[142:143], v[142:143], s[0:1]
	v_fmac_f32_e32 v68, 0xbf737871, v171
	v_add_f32_e32 v68, v143, v68
	v_pk_add_f32 v[144:145], v[66:67], v[144:145]
	v_add_f32_e32 v172, v142, v68
	v_pk_add_f32 v[144:145], v[58:59], v[144:145]
	v_mov_b32_e32 v68, v55
	v_mov_b32_e32 v66, v59
	v_pk_add_f32 v[144:145], v[54:55], v[144:145]
	v_pk_add_f32 v[54:55], v[68:69], v[66:67] neg_lo:[0,1] neg_hi:[0,1]
	v_sub_f32_e32 v60, v157, v143
	v_mov_b32_e32 v58, v55
	v_pk_add_f32 v[54:55], v[54:55], v[58:59]
	v_fma_f32 v157, -0.5, v167, v61
	v_mov_b32_e32 v55, v170
	v_fmamk_f32 v159, v168, 0x3f737871, v157
	v_pk_mul_f32 v[54:55], v[54:55], s[0:1]
	v_fmac_f32_e32 v157, 0xbf737871, v168
	v_add_f32_e32 v58, v55, v159
	v_add_f32_e32 v176, v54, v58
	v_pk_add_f32 v[58:59], v[66:67], v[68:69] neg_lo:[0,1] neg_hi:[0,1]
	v_sub_f32_e32 v55, v157, v55
	v_mov_b32_e32 v66, v59
	v_pk_add_f32 v[58:59], v[58:59], v[66:67]
	v_fmac_f32_e32 v61, -0.5, v177
	v_mov_b32_e32 v59, v168
	v_add_f32_e32 v54, v54, v55
	v_fmamk_f32 v55, v170, 0xbf737871, v61
	v_pk_mul_f32 v[58:59], v[58:59], s[0:1]
	v_fmac_f32_e32 v61, 0x3f737871, v170
	v_add_f32_e32 v55, v59, v55
	v_pk_add_f32 v[148:149], v[70:71], v[56:57] neg_lo:[0,1] neg_hi:[0,1]
	v_pk_add_f32 v[160:161], v[52:53], v[62:63]
	s_mov_b32 s6, 0x3f737871
	v_add_f32_e32 v66, v58, v55
	v_sub_f32_e32 v55, v61, v59
	v_pk_add_f32 v[146:147], v[62:63], v[52:53] neg_lo:[0,1] neg_hi:[0,1]
	v_pk_add_f32 v[162:163], v[70:71], v[62:63] neg_lo:[0,1] neg_hi:[0,1]
	v_pk_add_f32 v[164:165], v[56:57], v[52:53] neg_lo:[0,1] neg_hi:[0,1]
	v_add_f32_e32 v68, v58, v55
	v_pk_fma_f32 v[58:59], v[160:161], 0.5, v[64:65] op_sel_hi:[1,0,1] neg_lo:[1,0,0] neg_hi:[1,0,0]
	v_pk_mul_f32 v[160:161], v[148:149], s[6:7] op_sel_hi:[1,0]
	s_mov_b32 s12, s1
	v_add_f32_e32 v60, v142, v60
	v_pk_add_f32 v[142:143], v[62:63], v[64:65]
	v_pk_mul_f32 v[168:169], v[146:147], s[12:13] op_sel_hi:[1,0]
	v_pk_add_f32 v[162:163], v[164:165], v[162:163]
	v_pk_add_f32 v[164:165], v[58:59], v[160:161] op_sel:[0,1] op_sel_hi:[1,0]
	v_pk_add_f32 v[58:59], v[58:59], v[160:161] op_sel:[0,1] op_sel_hi:[1,0] neg_lo:[0,1] neg_hi:[0,1]
	v_pk_add_f32 v[142:143], v[70:71], v[142:143]
	v_pk_add_f32 v[160:161], v[58:59], v[168:169] op_sel:[0,1] op_sel_hi:[1,0]
	v_pk_add_f32 v[164:165], v[164:165], v[168:169] op_sel:[0,1] op_sel_hi:[1,0] neg_lo:[0,1] neg_hi:[0,1]
	s_mov_b32 s24, 0x3f4f1bbd
	v_pk_add_f32 v[142:143], v[56:57], v[142:143]
	v_mov_b32_e32 v58, v164
	v_mov_b32_e32 v59, v161
	s_mov_b32 s7, s0
	v_mov_b32_e32 v161, v165
	s_mov_b32 s20, s1
	s_mov_b32 s21, s24
	v_pk_add_f32 v[142:143], v[52:53], v[142:143]
	v_pk_fma_f32 v[168:169], v[162:163], s[0:1], v[58:59] op_sel_hi:[1,0,1]
	v_pk_mul_f32 v[58:59], v[66:67], s[6:7] op_sel_hi:[0,1]
	v_pk_fma_f32 v[66:67], v[162:163], s[0:1], v[160:161] op_sel_hi:[1,0,1]
	v_pk_add_f32 v[160:161], v[56:57], v[70:71]
	v_pk_add_f32 v[52:53], v[52:53], v[56:57] neg_lo:[0,1] neg_hi:[0,1]
	s_mov_b32 s25, s1
	v_pk_mul_f32 v[56:57], v[176:177], s[20:21] op_sel_hi:[0,1]
	v_pk_fma_f32 v[64:65], v[160:161], 0.5, v[64:65] op_sel_hi:[1,0,1] neg_lo:[1,0,0] neg_hi:[1,0,0]
	v_pk_mul_f32 v[160:161], v[146:147], s[6:7] op_sel_hi:[1,0]
	v_pk_add_f32 v[62:63], v[62:63], v[70:71] neg_lo:[0,1] neg_hi:[0,1]
	v_pk_fma_f32 v[146:147], v[166:167], s[24:25], v[56:57] neg_lo:[0,0,1] neg_hi:[0,0,1]
	v_pk_fma_f32 v[56:57], v[166:167], s[24:25], v[56:57] op_sel_hi:[0,1,1]
	v_pk_add_f32 v[152:153], v[138:139], v[74:75]
	v_pk_mul_f32 v[148:149], v[148:149], s[12:13] op_sel_hi:[1,0]
	v_pk_add_f32 v[52:53], v[52:53], v[62:63]
	v_mov_b32_e32 v147, v57
	v_pk_add_f32 v[56:57], v[64:65], v[160:161] op_sel:[0,1] op_sel_hi:[1,0] neg_lo:[0,1] neg_hi:[0,1]
	v_pk_add_f32 v[62:63], v[64:65], v[160:161] op_sel:[0,1] op_sel_hi:[1,0]
	s_mov_b32 s16, s0
	s_mov_b32 s17, s6
	v_pk_add_f32 v[62:63], v[62:63], v[148:149] op_sel:[0,1] op_sel_hi:[1,0]
	v_pk_add_f32 v[56:57], v[56:57], v[148:149] op_sel:[0,1] op_sel_hi:[1,0] neg_lo:[0,1] neg_hi:[0,1]
	v_pk_add_f32 v[152:153], v[152:153], v[78:79]
	v_pk_add_f32 v[154:155], v[72:73], v[76:77]
	v_pk_fma_f32 v[170:171], v[60:61], s[16:17], v[58:59] neg_lo:[0,0,1] neg_hi:[0,0,1]
	v_pk_fma_f32 v[58:59], v[60:61], s[16:17], v[58:59] op_sel_hi:[0,1,1]
	v_mov_b32_e32 v64, v56
	v_mov_b32_e32 v65, v63
	;; [unrolled: 1-line block ×3, first 2 shown]
	v_pk_add_f32 v[152:153], v[152:153], v[82:83]
	v_mov_b32_e32 v171, v59
	s_mov_b32 s18, 0xbe9e377a
	s_mov_b32 s19, s6
	v_pk_mul_f32 v[60:61], v[68:69], s[6:7] op_sel_hi:[0,1]
	v_pk_fma_f32 v[148:149], v[52:53], s[0:1], v[64:65] op_sel_hi:[1,0,1]
	v_pk_fma_f32 v[56:57], v[52:53], s[0:1], v[62:63] op_sel_hi:[1,0,1]
	s_mov_b32 s22, 0xbf4f1bbd
	s_mov_b32 s23, s1
	v_pk_mul_f32 v[52:53], v[54:55], s[20:21] op_sel_hi:[0,1]
	v_pk_add_f32 v[160:161], v[152:153], v[86:87]
	v_pk_add_f32 v[152:153], v[154:155], v[80:81]
	;; [unrolled: 1-line block ×3, first 2 shown]
	v_pk_add_f32 v[164:165], v[74:75], v[86:87] neg_lo:[0,1] neg_hi:[0,1]
	v_pk_add_f32 v[58:59], v[168:169], v[170:171]
	v_pk_fma_f32 v[68:69], v[172:173], s[18:19], v[60:61] op_sel_hi:[0,1,1] neg_lo:[0,0,1] neg_hi:[0,0,1]
	v_pk_fma_f32 v[70:71], v[174:175], s[22:23], v[52:53] op_sel_hi:[0,1,1] neg_lo:[0,0,1] neg_hi:[0,0,1]
	v_pk_add_f32 v[64:65], v[168:169], v[170:171] neg_lo:[0,1] neg_hi:[0,1]
	v_pk_fma_f32 v[154:155], v[154:155], 0.5, v[138:139] op_sel_hi:[1,0,1] neg_lo:[1,0,0] neg_hi:[1,0,0]
	v_pk_mul_f32 v[166:167], v[164:165], s[6:7] op_sel_hi:[1,0]
	v_pk_add_f32 v[168:169], v[78:79], v[82:83] neg_lo:[0,1] neg_hi:[0,1]
	v_pk_add_f32 v[172:173], v[74:75], v[78:79] neg_lo:[0,1] neg_hi:[0,1]
	;; [unrolled: 1-line block ×3, first 2 shown]
	v_pk_mul_f32 v[170:171], v[168:169], s[12:13] op_sel_hi:[1,0]
	v_pk_add_f32 v[172:173], v[172:173], v[174:175]
	v_pk_add_f32 v[174:175], v[154:155], v[166:167] op_sel:[0,1] op_sel_hi:[1,0] neg_lo:[0,1] neg_hi:[0,1]
	v_pk_add_f32 v[154:155], v[154:155], v[166:167] op_sel:[0,1] op_sel_hi:[1,0]
	v_pk_add_f32 v[180:181], v[80:81], v[84:85] neg_lo:[0,1] neg_hi:[0,1]
	v_pk_add_f32 v[166:167], v[154:155], v[170:171] op_sel:[0,1] op_sel_hi:[1,0]
	v_pk_add_f32 v[170:171], v[174:175], v[170:171] op_sel:[0,1] op_sel_hi:[1,0] neg_lo:[0,1] neg_hi:[0,1]
	v_mov_b32_e32 v155, v167
	v_mov_b32_e32 v154, v170
	v_pk_fma_f32 v[174:175], v[172:173], s[0:1], v[154:155] op_sel_hi:[1,0,1]
	v_pk_add_f32 v[154:155], v[80:81], v[84:85]
	v_pk_add_f32 v[152:153], v[152:153], v[84:85]
	v_pk_fma_f32 v[72:73], v[154:155], 0.5, v[72:73] op_sel_hi:[1,0,1] neg_lo:[1,0,0] neg_hi:[1,0,0]
	v_pk_add_f32 v[154:155], v[76:77], v[140:141] neg_lo:[0,1] neg_hi:[0,1]
	v_pk_mul_f32 v[182:183], v[180:181], s[12:13] op_sel_hi:[1,0]
	v_pk_mul_f32 v[176:177], v[154:155], s[6:7] op_sel_hi:[1,0]
	v_pk_add_f32 v[76:77], v[76:77], v[80:81] neg_lo:[0,1] neg_hi:[0,1]
	v_pk_add_f32 v[178:179], v[72:73], v[176:177] op_sel:[0,1] op_sel_hi:[1,0]
	v_pk_add_f32 v[80:81], v[140:141], v[84:85] neg_lo:[0,1] neg_hi:[0,1]
	v_mov_b32_e32 v157, v155
	v_pk_add_f32 v[72:73], v[72:73], v[176:177] op_sel:[0,1] op_sel_hi:[1,0] neg_lo:[0,1] neg_hi:[0,1]
	v_pk_add_f32 v[162:163], v[152:153], v[140:141]
	v_pk_add_f32 v[178:179], v[182:183], v[178:179] op_sel:[1,0] op_sel_hi:[0,1]
	v_pk_add_f32 v[76:77], v[76:77], v[80:81]
	v_fmamk_f32 v140, v181, 0x3f737871, v184
	v_pk_mul_f32 v[84:85], v[156:157], s[0:1]
	v_fmac_f32_e32 v184, 0xbf737871, v181
	v_pk_add_f32 v[72:73], v[72:73], v[182:183] op_sel:[0,1] op_sel_hi:[1,0] neg_lo:[0,1] neg_hi:[0,1]
	v_pk_fma_f32 v[80:81], v[76:77], s[0:1], v[178:179] op_sel_hi:[1,0,1]
	v_sub_f32_e32 v140, v140, v85
	v_add_f32_e32 v85, v85, v184
	v_mov_b32_e32 v178, v72
	v_mov_b32_e32 v159, v154
	v_add_f32_e32 v140, v84, v140
	v_add_f32_e32 v84, v84, v85
	v_pk_fma_f32 v[156:157], v[76:77], s[0:1], v[178:179] op_sel_hi:[1,0,1]
	v_pk_fma_f32 v[76:77], v[76:77], s[0:1], v[72:73] op_sel_hi:[1,0,1]
	v_fmamk_f32 v85, v180, 0xbf737871, v185
	v_pk_mul_f32 v[72:73], v[158:159], s[0:1]
	v_fmac_f32_e32 v185, 0x3f737871, v180
	v_add_f32_e32 v85, v73, v85
	v_sub_f32_e32 v73, v185, v73
	v_add_f32_e32 v158, v72, v85
	v_add_f32_e32 v170, v72, v73
	v_pk_mul_f32 v[72:73], v[156:157], s[12:13] op_sel_hi:[1,0]
	s_nop 0
	v_pk_fma_f32 v[176:177], v[156:157], s[24:25], v[72:73] op_sel:[0,0,1] op_sel_hi:[1,0,0] neg_lo:[0,0,1] neg_hi:[0,0,1]
	v_pk_fma_f32 v[72:73], v[156:157], s[24:25], v[72:73] op_sel:[0,0,1] op_sel_hi:[1,0,0]
	s_barrier
	v_mov_b32_e32 v177, v73
	v_pk_add_f32 v[72:73], v[74:75], v[86:87]
	v_pk_add_f32 v[74:75], v[78:79], v[74:75] neg_lo:[0,1] neg_hi:[0,1]
	v_pk_add_f32 v[78:79], v[82:83], v[86:87] neg_lo:[0,1] neg_hi:[0,1]
	v_pk_fma_f32 v[72:73], v[72:73], 0.5, v[138:139] op_sel_hi:[1,0,1] neg_lo:[1,0,0] neg_hi:[1,0,0]
	v_pk_add_f32 v[74:75], v[74:75], v[78:79]
	v_pk_mul_f32 v[78:79], v[168:169], s[6:7] op_sel_hi:[1,0]
	v_pk_mul_f32 v[82:83], v[164:165], s[12:13] op_sel_hi:[1,0]
	v_pk_add_f32 v[86:87], v[72:73], v[78:79] op_sel:[0,1] op_sel_hi:[1,0]
	v_pk_add_f32 v[72:73], v[72:73], v[78:79] op_sel:[0,1] op_sel_hi:[1,0] neg_lo:[0,1] neg_hi:[0,1]
	s_nop 0
	v_pk_add_f32 v[78:79], v[72:73], v[82:83] op_sel:[0,1] op_sel_hi:[1,0]
	v_pk_add_f32 v[82:83], v[86:87], v[82:83] op_sel:[0,1] op_sel_hi:[1,0] neg_lo:[0,1] neg_hi:[0,1]
	v_mov_b32_e32 v73, v79
	v_mov_b32_e32 v72, v82
	v_pk_fma_f32 v[86:87], v[74:75], s[0:1], v[72:73] op_sel_hi:[1,0,1]
	v_pk_mul_f32 v[72:73], v[158:159], s[6:7] op_sel_hi:[0,1]
	v_pk_fma_f32 v[138:139], v[140:141], s[16:17], v[72:73] neg_lo:[0,0,1] neg_hi:[0,0,1]
	v_pk_fma_f32 v[72:73], v[140:141], s[16:17], v[72:73] op_sel_hi:[0,1,1]
	v_pk_mul_f32 v[140:141], v[170:171], s[6:7] op_sel_hi:[0,1]
	v_mov_b32_e32 v79, v83
	v_mov_b32_e32 v139, v73
	v_pk_fma_f32 v[84:85], v[84:85], s[18:19], v[140:141] op_sel_hi:[0,1,1] neg_lo:[0,0,1] neg_hi:[0,0,1]
	v_pk_fma_f32 v[78:79], v[74:75], s[0:1], v[78:79] op_sel_hi:[1,0,1]
	v_pk_add_f32 v[72:73], v[86:87], v[138:139]
	v_pk_add_f32 v[74:75], v[78:79], v[84:85]
	ds_write_b128 v150, v[72:75] offset:16
	v_mov_b32_e32 v167, v171
	v_pk_mul_f32 v[72:73], v[76:77], s[20:21] op_sel:[1,0]
	v_pk_fma_f32 v[82:83], v[172:173], s[0:1], v[166:167] op_sel_hi:[1,0,1]
	v_pk_fma_f32 v[76:77], v[80:81], s[22:23], v[72:73] op_sel_hi:[0,1,1] neg_lo:[0,0,1] neg_hi:[0,0,1]
	v_pk_add_f32 v[72:73], v[82:83], v[76:77]
	v_pk_add_f32 v[74:75], v[160:161], v[162:163] neg_lo:[0,1] neg_hi:[0,1]
	ds_write_b128 v150, v[72:75] offset:32
	v_pk_add_f32 v[72:73], v[174:175], v[176:177] neg_lo:[0,1] neg_hi:[0,1]
	v_pk_add_f32 v[74:75], v[86:87], v[138:139] neg_lo:[0,1] neg_hi:[0,1]
	v_pk_add_f32 v[60:61], v[66:67], v[68:69]
	v_pk_add_f32 v[52:53], v[56:57], v[70:71]
	v_pk_add_f32 v[54:55], v[142:143], v[144:145] neg_lo:[0,1] neg_hi:[0,1]
	v_pk_add_f32 v[62:63], v[148:149], v[146:147] neg_lo:[0,1] neg_hi:[0,1]
	v_pk_add_f32 v[152:153], v[160:161], v[162:163]
	v_pk_add_f32 v[154:155], v[174:175], v[176:177]
	ds_write_b128 v150, v[72:75] offset:48
	v_pk_add_f32 v[72:73], v[78:79], v[84:85] neg_lo:[0,1] neg_hi:[0,1]
	v_pk_add_f32 v[74:75], v[82:83], v[76:77] neg_lo:[0,1] neg_hi:[0,1]
	ds_write_b128 v150, v[152:155]
	ds_write_b128 v150, v[72:75] offset:64
	s_and_saveexec_b64 s[0:1], s[4:5]
	s_cbranch_execz .LBB0_17
; %bb.16:
	v_add_lshl_u32 v76, v209, v151, 3
	v_pk_add_f32 v[72:73], v[144:145], v[142:143]
	v_pk_add_f32 v[74:75], v[148:149], v[146:147]
	v_pk_add_f32 v[66:67], v[66:67], v[68:69] neg_lo:[0,1] neg_hi:[0,1]
	v_pk_add_f32 v[68:69], v[56:57], v[70:71] neg_lo:[0,1] neg_hi:[0,1]
	ds_write_b128 v76, v[72:75]
	ds_write_b128 v76, v[58:61] offset:16
	ds_write_b128 v76, v[52:55] offset:32
	;; [unrolled: 1-line block ×4, first 2 shown]
.LBB0_17:
	s_or_b64 exec, exec, s[0:1]
	v_mov_b32_e32 v180, v46
	v_mov_b32_e32 v181, v46
	v_add_u32_e32 v46, 0x300, v207
	s_waitcnt lgkmcnt(0)
	s_barrier
	ds_read2_b64 v[66:69], v46 offset0:24 offset1:224
	v_add_u32_e32 v46, 0xd00, v207
	ds_read2_b64 v[82:85], v46 offset0:24 offset1:224
	v_add_u32_e32 v46, 0x1700, v207
	;; [unrolled: 2-line block ×4, first 2 shown]
	ds_read2_b64 v[70:73], v46 offset0:24 offset1:224
	ds_read_b64 v[202:203], v208
	ds_read_b64 v[188:189], v207 offset:13760
	v_mov_b32_e32 v200, v12
	v_mov_b32_e32 v201, v12
	;; [unrolled: 1-line block ×28, first 2 shown]
	s_and_saveexec_b64 s[0:1], s[2:3]
	s_cbranch_execz .LBB0_19
; %bb.18:
	v_add_u32_e32 v56, 0x180, v207
	ds_read2st64_b64 v[58:61], v56 offset0:3 offset1:8
	ds_read2st64_b64 v[52:55], v56 offset0:13 offset1:18
	;; [unrolled: 1-line block ×3, first 2 shown]
.LBB0_19:
	s_or_b64 exec, exec, s[0:1]
	s_waitcnt lgkmcnt(6)
	v_pk_mul_f32 v[12:13], v[12:13], v[68:69]
	s_waitcnt lgkmcnt(5)
	v_pk_mul_f32 v[14:15], v[14:15], v[84:85]
	s_waitcnt lgkmcnt(4)
	v_pk_mul_f32 v[8:9], v[8:9], v[80:81]
	v_pk_fma_f32 v[216:217], v[200:201], v[68:69], v[12:13] op_sel:[0,0,1] op_sel_hi:[1,1,0]
	v_pk_fma_f32 v[12:13], v[200:201], v[68:69], v[12:13] op_sel:[0,0,1] op_sel_hi:[1,1,0] neg_lo:[0,0,1] neg_hi:[0,0,1]
	v_pk_fma_f32 v[68:69], v[198:199], v[84:85], v[14:15] op_sel:[0,0,1] op_sel_hi:[1,1,0]
	v_pk_fma_f32 v[14:15], v[198:199], v[84:85], v[14:15] op_sel:[0,0,1] op_sel_hi:[1,1,0] neg_lo:[0,0,1] neg_hi:[0,0,1]
	s_waitcnt lgkmcnt(3)
	v_pk_mul_f32 v[10:11], v[10:11], v[76:77]
	v_mov_b32_e32 v69, v15
	v_pk_fma_f32 v[14:15], v[196:197], v[80:81], v[8:9] op_sel:[0,0,1] op_sel_hi:[1,1,0]
	v_pk_fma_f32 v[8:9], v[196:197], v[80:81], v[8:9] op_sel:[0,0,1] op_sel_hi:[1,1,0] neg_lo:[0,0,1] neg_hi:[0,0,1]
	s_waitcnt lgkmcnt(2)
	v_pk_mul_f32 v[118:119], v[118:119], v[72:73]
	v_mov_b32_e32 v15, v9
	v_pk_fma_f32 v[8:9], v[194:195], v[76:77], v[10:11] op_sel:[0,0,1] op_sel_hi:[1,1,0]
	v_pk_fma_f32 v[10:11], v[194:195], v[76:77], v[10:11] op_sel:[0,0,1] op_sel_hi:[1,1,0] neg_lo:[0,0,1] neg_hi:[0,0,1]
	v_mov_b32_e32 v217, v13
	v_mov_b32_e32 v9, v11
	v_pk_fma_f32 v[10:11], v[192:193], v[72:73], v[118:119] op_sel:[0,0,1] op_sel_hi:[1,1,0]
	v_pk_fma_f32 v[72:73], v[192:193], v[72:73], v[118:119] op_sel:[0,0,1] op_sel_hi:[1,1,0] neg_lo:[0,0,1] neg_hi:[0,0,1]
	s_mov_b32 s0, -0.5
	v_mov_b32_e32 v11, v73
	v_pk_add_f32 v[76:77], v[14:15], v[10:11]
	s_waitcnt lgkmcnt(1)
	v_pk_add_f32 v[72:73], v[202:203], v[68:69]
	s_mov_b32 s1, 0x3f5db3d7
	v_mov_b32_e32 v12, v216
	v_pk_add_f32 v[80:81], v[14:15], v[10:11] neg_lo:[0,1] neg_hi:[0,1]
	v_pk_add_f32 v[14:15], v[216:217], v[14:15]
	v_fmac_f32_e32 v13, -0.5, v77
	s_mov_b32 s16, 0.5
	v_pk_add_f32 v[72:73], v[72:73], v[8:9]
	v_fmac_f32_e32 v12, -0.5, v76
	v_pk_add_f32 v[10:11], v[14:15], v[10:11]
	v_fmamk_f32 v14, v80, 0x3f5db3d7, v13
	v_pk_add_f32 v[84:85], v[68:69], v[8:9]
	v_pk_add_f32 v[8:9], v[68:69], v[8:9] neg_lo:[0,1] neg_hi:[0,1]
	s_mov_b32 s12, s1
	s_mov_b32 s18, s1
	;; [unrolled: 1-line block ×3, first 2 shown]
	v_fmamk_f32 v76, v81, 0xbf5db3d7, v12
	v_pk_fma_f32 v[84:85], v[84:85], 0.5, v[202:203] op_sel_hi:[1,0,1] neg_lo:[1,0,0] neg_hi:[1,0,0]
	v_pk_mul_f32 v[8:9], v[8:9], s[12:13] op_sel_hi:[1,0]
	s_mov_b32 s17, s1
	v_pk_mul_f32 v[14:15], v[14:15], s[18:19] op_sel_hi:[0,1]
	v_pk_add_f32 v[68:69], v[84:85], v[8:9] op_sel:[0,1] op_sel_hi:[1,0] neg_lo:[0,1] neg_hi:[0,1]
	v_pk_add_f32 v[8:9], v[84:85], v[8:9] op_sel:[0,1] op_sel_hi:[1,0]
	v_pk_fma_f32 v[118:119], v[76:77], s[16:17], v[14:15] neg_lo:[0,0,1] neg_hi:[0,0,1]
	v_pk_fma_f32 v[14:15], v[76:77], s[16:17], v[14:15] op_sel_hi:[0,1,1]
	v_mov_b32_e32 v84, v68
	v_mov_b32_e32 v85, v9
	;; [unrolled: 1-line block ×3, first 2 shown]
	v_fmac_f32_e32 v12, 0x3f5db3d7, v81
	v_fmac_f32_e32 v13, 0xbf5db3d7, v80
	v_pk_add_f32 v[80:81], v[72:73], v[10:11]
	v_pk_add_f32 v[14:15], v[84:85], v[118:119]
	s_waitcnt lgkmcnt(0)
	s_barrier
	ds_write2_b64 v210, v[80:81], v[14:15] offset1:10
	v_mov_b32_e32 v14, v13
	v_pk_mul_f32 v[14:15], v[14:15], s[18:19] op_sel_hi:[0,1]
	v_pk_fma_f32 v[12:13], v[12:13], s[0:1], v[14:15] op_sel_hi:[0,1,1] neg_lo:[0,0,1] neg_hi:[0,0,1]
	v_mov_b32_e32 v9, v69
	v_pk_mul_f32 v[50:51], v[50:51], v[78:79]
	v_pk_add_f32 v[14:15], v[8:9], v[12:13]
	v_pk_add_f32 v[10:11], v[72:73], v[10:11] neg_lo:[0,1] neg_hi:[0,1]
	v_pk_mul_f32 v[44:45], v[44:45], v[74:75]
	ds_write2_b64 v210, v[14:15], v[10:11] offset0:20 offset1:30
	v_pk_add_f32 v[8:9], v[8:9], v[12:13] neg_lo:[0,1] neg_hi:[0,1]
	v_pk_fma_f32 v[12:13], v[184:185], v[78:79], v[50:51] op_sel:[0,0,1] op_sel_hi:[1,1,0]
	v_pk_fma_f32 v[14:15], v[184:185], v[78:79], v[50:51] op_sel:[0,0,1] op_sel_hi:[1,1,0] neg_lo:[0,0,1] neg_hi:[0,0,1]
	v_pk_mul_f32 v[46:47], v[46:47], v[70:71]
	v_mov_b32_e32 v13, v15
	v_pk_fma_f32 v[14:15], v[182:183], v[74:75], v[44:45] op_sel:[0,0,1] op_sel_hi:[1,1,0]
	v_pk_fma_f32 v[44:45], v[182:183], v[74:75], v[44:45] op_sel:[0,0,1] op_sel_hi:[1,1,0] neg_lo:[0,0,1] neg_hi:[0,0,1]
	v_pk_mul_f32 v[48:49], v[48:49], v[82:83]
	v_pk_mul_f32 v[120:121], v[120:121], v[188:189]
	v_pk_add_f32 v[10:11], v[84:85], v[118:119] neg_lo:[0,1] neg_hi:[0,1]
	v_mov_b32_e32 v15, v45
	v_pk_fma_f32 v[44:45], v[180:181], v[70:71], v[46:47] op_sel:[0,0,1] op_sel_hi:[1,1,0]
	v_pk_fma_f32 v[46:47], v[180:181], v[70:71], v[46:47] op_sel:[0,0,1] op_sel_hi:[1,1,0] neg_lo:[0,0,1] neg_hi:[0,0,1]
	ds_write2_b64 v210, v[10:11], v[8:9] offset0:40 offset1:50
	v_pk_fma_f32 v[8:9], v[186:187], v[82:83], v[48:49] op_sel:[0,0,1] op_sel_hi:[1,1,0]
	v_pk_fma_f32 v[10:11], v[186:187], v[82:83], v[48:49] op_sel:[0,0,1] op_sel_hi:[1,1,0] neg_lo:[0,0,1] neg_hi:[0,0,1]
	v_mov_b32_e32 v45, v47
	v_pk_fma_f32 v[46:47], v[190:191], v[188:189], v[120:121] op_sel:[0,0,1] op_sel_hi:[1,1,0]
	v_pk_fma_f32 v[48:49], v[190:191], v[188:189], v[120:121] op_sel:[0,0,1] op_sel_hi:[1,1,0] neg_lo:[0,0,1] neg_hi:[0,0,1]
	v_mov_b32_e32 v10, v8
	v_mov_b32_e32 v47, v49
	v_pk_add_f32 v[50:51], v[14:15], v[46:47]
	v_mov_b32_e32 v9, v11
	v_fmac_f32_e32 v10, -0.5, v50
	v_pk_add_f32 v[68:69], v[14:15], v[46:47] neg_lo:[0,1] neg_hi:[0,1]
	v_fmac_f32_e32 v11, -0.5, v51
	v_pk_add_f32 v[48:49], v[66:67], v[12:13]
	v_fmamk_f32 v50, v69, 0xbf5db3d7, v10
	v_fmac_f32_e32 v10, 0x3f5db3d7, v69
	v_pk_add_f32 v[8:9], v[8:9], v[14:15]
	v_fmamk_f32 v14, v68, 0x3f5db3d7, v11
	v_fmac_f32_e32 v11, 0xbf5db3d7, v68
	v_pk_add_f32 v[68:69], v[12:13], v[44:45]
	v_pk_add_f32 v[12:13], v[12:13], v[44:45] neg_lo:[0,1] neg_hi:[0,1]
	v_pk_fma_f32 v[66:67], v[68:69], 0.5, v[66:67] op_sel_hi:[1,0,1] neg_lo:[1,0,0] neg_hi:[1,0,0]
	v_pk_mul_f32 v[12:13], v[12:13], s[12:13] op_sel_hi:[1,0]
	v_pk_mul_f32 v[14:15], v[14:15], s[18:19] op_sel_hi:[0,1]
	v_pk_add_f32 v[48:49], v[48:49], v[44:45]
	v_pk_add_f32 v[44:45], v[66:67], v[12:13] op_sel:[0,1] op_sel_hi:[1,0] neg_lo:[0,1] neg_hi:[0,1]
	v_pk_add_f32 v[12:13], v[66:67], v[12:13] op_sel:[0,1] op_sel_hi:[1,0]
	v_pk_fma_f32 v[68:69], v[50:51], s[16:17], v[14:15] neg_lo:[0,0,1] neg_hi:[0,0,1]
	v_pk_fma_f32 v[14:15], v[50:51], s[16:17], v[14:15] op_sel_hi:[0,1,1]
	v_pk_add_f32 v[8:9], v[8:9], v[46:47]
	v_mov_b32_e32 v66, v44
	v_mov_b32_e32 v67, v13
	v_mov_b32_e32 v69, v15
	v_pk_add_f32 v[46:47], v[48:49], v[8:9]
	v_pk_add_f32 v[14:15], v[66:67], v[68:69]
	ds_write2_b64 v211, v[46:47], v[14:15] offset1:10
	v_mov_b32_e32 v14, v11
	v_pk_mul_f32 v[14:15], v[14:15], s[18:19] op_sel_hi:[0,1]
	v_pk_fma_f32 v[10:11], v[10:11], s[0:1], v[14:15] op_sel_hi:[0,1,1] neg_lo:[0,0,1] neg_hi:[0,0,1]
	v_mov_b32_e32 v13, v45
	v_pk_add_f32 v[14:15], v[12:13], v[10:11]
	v_pk_add_f32 v[8:9], v[48:49], v[8:9] neg_lo:[0,1] neg_hi:[0,1]
	v_mov_b32_e32 v178, v40
	v_mov_b32_e32 v179, v40
	;; [unrolled: 1-line block ×69, first 2 shown]
	v_add_u32_e32 v215, 0xf00, v207
	v_add_u32_e32 v214, 0x1680, v207
	;; [unrolled: 1-line block ×3, first 2 shown]
	s_mov_b32 s6, 0xbf5db3d7
	ds_write2_b64 v211, v[14:15], v[8:9] offset0:20 offset1:30
	v_pk_add_f32 v[8:9], v[66:67], v[68:69] neg_lo:[0,1] neg_hi:[0,1]
	v_pk_add_f32 v[10:11], v[12:13], v[10:11] neg_lo:[0,1] neg_hi:[0,1]
	ds_write2_b64 v211, v[8:9], v[10:11] offset0:40 offset1:50
	s_and_saveexec_b64 s[12:13], s[2:3]
	s_cbranch_execz .LBB0_21
; %bb.20:
	v_pk_mul_f32 v[8:9], v[2:3], v[52:53] op_sel:[0,1]
	v_pk_mul_f32 v[10:11], v[6:7], v[62:63] op_sel:[0,1]
	v_pk_fma_f32 v[46:47], v[2:3], v[52:53], v[8:9] op_sel:[0,0,1] op_sel_hi:[1,1,0]
	v_pk_fma_f32 v[2:3], v[2:3], v[52:53], v[8:9] op_sel:[0,0,1] op_sel_hi:[1,0,0] neg_lo:[1,0,0] neg_hi:[1,0,0]
	v_pk_mul_f32 v[14:15], v[4:5], v[54:55] op_sel:[0,1]
	v_mov_b32_e32 v47, v3
	v_pk_fma_f32 v[2:3], v[6:7], v[62:63], v[10:11] op_sel:[0,0,1] op_sel_hi:[1,1,0]
	v_pk_fma_f32 v[6:7], v[6:7], v[62:63], v[10:11] op_sel:[0,0,1] op_sel_hi:[1,0,0] neg_lo:[1,0,0] neg_hi:[1,0,0]
	v_pk_mul_f32 v[44:45], v[114:115], v[64:65] op_sel:[0,1]
	v_mov_b32_e32 v3, v7
	v_pk_fma_f32 v[48:49], v[4:5], v[54:55], v[14:15] op_sel:[0,0,1] op_sel_hi:[1,1,0]
	v_pk_fma_f32 v[4:5], v[4:5], v[54:55], v[14:15] op_sel:[0,0,1] op_sel_hi:[1,0,0] neg_lo:[1,0,0] neg_hi:[1,0,0]
	v_pk_add_f32 v[6:7], v[2:3], v[46:47]
	v_pk_add_f32 v[8:9], v[46:47], v[2:3] neg_lo:[0,1] neg_hi:[0,1]
	s_mov_b32 s2, s1
	v_mov_b32_e32 v49, v5
	v_pk_fma_f32 v[4:5], v[114:115], v[64:65], v[44:45] op_sel:[0,0,1] op_sel_hi:[1,1,0]
	v_pk_fma_f32 v[14:15], v[114:115], v[64:65], v[44:45] op_sel:[0,0,1] op_sel_hi:[1,0,0] neg_lo:[1,0,0] neg_hi:[1,0,0]
	v_pk_mul_f32 v[12:13], v[0:1], v[60:61] op_sel:[0,1]
	v_pk_fma_f32 v[6:7], -0.5, v[6:7], v[58:59] op_sel_hi:[0,1,1]
	v_pk_mul_f32 v[8:9], v[8:9], s[2:3] op_sel_hi:[1,0]
	v_mov_b32_e32 v5, v15
	v_pk_add_f32 v[10:11], v[8:9], v[6:7] op_sel:[1,0] op_sel_hi:[0,1]
	v_pk_add_f32 v[6:7], v[6:7], v[8:9] op_sel:[0,1] op_sel_hi:[1,0] neg_lo:[0,1] neg_hi:[0,1]
	v_pk_add_f32 v[14:15], v[48:49], v[4:5]
	v_pk_fma_f32 v[44:45], v[0:1], v[60:61], v[12:13] op_sel:[0,0,1] op_sel_hi:[1,0,0]
	v_pk_fma_f32 v[0:1], v[0:1], v[60:61], v[12:13] op_sel:[0,0,1] op_sel_hi:[1,0,0] neg_lo:[1,0,0] neg_hi:[1,0,0]
	v_mov_b32_e32 v9, v7
	v_mov_b32_e32 v45, v1
	;; [unrolled: 1-line block ×3, first 2 shown]
	v_pk_add_f32 v[12:13], v[48:49], v[4:5] neg_lo:[0,1] neg_hi:[0,1]
	v_fmac_f32_e32 v1, -0.5, v15
	v_mov_b32_e32 v8, v10
	v_fmac_f32_e32 v7, -0.5, v14
	v_fmamk_f32 v10, v12, 0xbf5db3d7, v1
	v_fmac_f32_e32 v1, 0x3f5db3d7, v12
	v_fmamk_f32 v0, v13, 0x3f5db3d7, v7
	v_fmac_f32_e32 v7, 0xbf5db3d7, v13
	v_mul_f32_e32 v51, 0.5, v1
	v_fmac_f32_e32 v51, 0x3f5db3d7, v7
	v_mul_f32_e32 v52, 0xbf5db3d7, v1
	v_pk_add_f32 v[12:13], v[48:49], v[44:45]
	s_mov_b32 s7, s0
	v_pk_add_f32 v[44:45], v[46:47], v[58:59]
	v_fmac_f32_e32 v52, 0.5, v7
	v_pk_add_f32 v[4:5], v[4:5], v[12:13]
	v_sub_f32_e32 v1, v11, v51
	v_pk_mul_f32 v[12:13], v[10:11], s[6:7] op_sel_hi:[0,1]
	v_pk_add_f32 v[2:3], v[2:3], v[44:45]
	v_add_lshl_u32 v50, v209, v212, 3
	v_pk_fma_f32 v[12:13], v[0:1], s[0:1], v[12:13] op_sel_hi:[0,1,1]
	v_sub_f32_e32 v0, v6, v52
	v_pk_add_f32 v[44:45], v[2:3], v[4:5] neg_lo:[0,1] neg_hi:[0,1]
	v_add_f32_e32 v7, v11, v51
	v_add_f32_e32 v6, v6, v52
	v_pk_add_f32 v[2:3], v[2:3], v[4:5]
	ds_write2_b64 v50, v[2:3], v[6:7] offset1:10
	v_pk_add_f32 v[2:3], v[8:9], v[12:13]
	v_pk_add_f32 v[14:15], v[8:9], v[12:13] neg_lo:[0,1] neg_hi:[0,1]
	ds_write2_b64 v50, v[2:3], v[44:45] offset0:20 offset1:30
	ds_write2_b64 v50, v[0:1], v[14:15] offset0:40 offset1:50
.LBB0_21:
	s_or_b64 exec, exec, s[12:13]
	s_waitcnt lgkmcnt(0)
	s_barrier
	ds_read2_b64 v[4:7], v207 offset0:120 offset1:240
	v_add_u32_e32 v68, 0x800, v207
	ds_read2_b64 v[8:11], v68 offset0:104 offset1:224
	v_add_u32_e32 v69, 0x1000, v207
	ds_read2_b64 v[12:15], v69 offset0:88 offset1:208
	s_waitcnt lgkmcnt(2)
	v_pk_mul_f32 v[40:41], v[40:41], v[4:5]
	v_add_u32_e32 v70, 0x1800, v207
	v_pk_fma_f32 v[66:67], v[178:179], v[4:5], v[40:41] op_sel:[0,0,1] op_sel_hi:[1,1,0]
	v_pk_fma_f32 v[4:5], v[178:179], v[4:5], v[40:41] op_sel:[0,0,1] op_sel_hi:[1,1,0] neg_lo:[0,0,1] neg_hi:[0,0,1]
	ds_read2_b64 v[44:47], v70 offset0:72 offset1:192
	v_mov_b32_e32 v67, v5
	v_pk_mul_f32 v[4:5], v[42:43], v[6:7]
	v_add_u32_e32 v71, 0x2000, v207
	v_pk_fma_f32 v[40:41], v[176:177], v[6:7], v[4:5] op_sel:[0,0,1] op_sel_hi:[1,1,0]
	v_pk_fma_f32 v[4:5], v[176:177], v[6:7], v[4:5] op_sel:[0,0,1] op_sel_hi:[1,1,0] neg_lo:[0,0,1] neg_hi:[0,0,1]
	ds_read2_b64 v[48:51], v71 offset0:56 offset1:176
	v_mov_b32_e32 v41, v5
	s_waitcnt lgkmcnt(3)
	v_pk_mul_f32 v[4:5], v[36:37], v[8:9]
	v_add_u32_e32 v72, 0x2800, v207
	v_pk_fma_f32 v[6:7], v[174:175], v[8:9], v[4:5] op_sel:[0,0,1] op_sel_hi:[1,1,0]
	v_pk_fma_f32 v[4:5], v[174:175], v[8:9], v[4:5] op_sel:[0,0,1] op_sel_hi:[1,1,0] neg_lo:[0,0,1] neg_hi:[0,0,1]
	ds_read2_b64 v[52:55], v72 offset0:40 offset1:160
	v_mov_b32_e32 v7, v5
	v_pk_mul_f32 v[4:5], v[38:39], v[10:11]
	v_add_u32_e32 v73, 0x3000, v207
	v_pk_fma_f32 v[8:9], v[172:173], v[10:11], v[4:5] op_sel:[0,0,1] op_sel_hi:[1,1,0]
	v_pk_fma_f32 v[4:5], v[172:173], v[10:11], v[4:5] op_sel:[0,0,1] op_sel_hi:[1,1,0] neg_lo:[0,0,1] neg_hi:[0,0,1]
	ds_read2_b64 v[58:61], v73 offset0:24 offset1:144
	ds_read_b64 v[62:63], v208
	ds_read_b64 v[64:65], v207 offset:14400
	v_mov_b32_e32 v9, v5
	s_waitcnt lgkmcnt(6)
	v_pk_mul_f32 v[4:5], v[32:33], v[12:13]
	v_mad_u64_u32 v[2:3], s[0:1], s10, v112, 0
	v_pk_fma_f32 v[10:11], v[170:171], v[12:13], v[4:5] op_sel:[0,0,1] op_sel_hi:[1,1,0]
	v_pk_fma_f32 v[4:5], v[170:171], v[12:13], v[4:5] op_sel:[0,0,1] op_sel_hi:[1,1,0] neg_lo:[0,0,1] neg_hi:[0,0,1]
	s_mov_b32 s0, 0x3f3504f3
	v_mov_b32_e32 v11, v5
	v_pk_mul_f32 v[4:5], v[34:35], v[14:15]
	s_mov_b32 s2, 0x3f6c835e
	v_pk_fma_f32 v[12:13], v[168:169], v[14:15], v[4:5] op_sel:[0,0,1] op_sel_hi:[1,1,0]
	v_pk_fma_f32 v[4:5], v[168:169], v[14:15], v[4:5] op_sel:[0,0,1] op_sel_hi:[1,1,0] neg_lo:[0,0,1] neg_hi:[0,0,1]
	s_mov_b32 s6, 0x3ec3ef15
	v_mov_b32_e32 v13, v5
	s_waitcnt lgkmcnt(5)
	v_pk_mul_f32 v[4:5], v[24:25], v[44:45]
	s_waitcnt lgkmcnt(0)
	v_pk_fma_f32 v[14:15], v[166:167], v[44:45], v[4:5] op_sel:[0,0,1] op_sel_hi:[1,1,0]
	v_pk_fma_f32 v[4:5], v[166:167], v[44:45], v[4:5] op_sel:[0,0,1] op_sel_hi:[1,1,0] neg_lo:[0,0,1] neg_hi:[0,0,1]
	s_barrier
	v_mov_b32_e32 v15, v5
	v_pk_mul_f32 v[4:5], v[26:27], v[46:47]
	s_nop 0
	v_pk_fma_f32 v[24:25], v[164:165], v[46:47], v[4:5] op_sel:[0,0,1] op_sel_hi:[1,1,0]
	v_pk_fma_f32 v[4:5], v[164:165], v[46:47], v[4:5] op_sel:[0,0,1] op_sel_hi:[1,1,0] neg_lo:[0,0,1] neg_hi:[0,0,1]
	v_mov_b32_e32 v0, s14
	v_mov_b32_e32 v25, v5
	v_pk_mul_f32 v[4:5], v[28:29], v[48:49]
	v_mov_b32_e32 v1, s15
	v_pk_fma_f32 v[26:27], v[162:163], v[48:49], v[4:5] op_sel:[0,0,1] op_sel_hi:[1,1,0]
	v_pk_fma_f32 v[4:5], v[162:163], v[48:49], v[4:5] op_sel:[0,0,1] op_sel_hi:[1,1,0] neg_lo:[0,0,1] neg_hi:[0,0,1]
	s_movk_i32 s10, 0x1000
	v_mov_b32_e32 v27, v5
	v_pk_mul_f32 v[4:5], v[30:31], v[50:51]
	v_pk_add_f32 v[26:27], v[66:67], v[26:27] neg_lo:[0,1] neg_hi:[0,1]
	v_pk_fma_f32 v[28:29], v[160:161], v[50:51], v[4:5] op_sel:[0,0,1] op_sel_hi:[1,1,0]
	v_pk_fma_f32 v[4:5], v[160:161], v[50:51], v[4:5] op_sel:[0,0,1] op_sel_hi:[1,1,0] neg_lo:[0,0,1] neg_hi:[0,0,1]
	v_pk_fma_f32 v[34:35], v[66:67], 2.0, v[26:27] op_sel_hi:[1,0,1] neg_lo:[0,0,1] neg_hi:[0,0,1]
	v_mov_b32_e32 v29, v5
	v_pk_mul_f32 v[4:5], v[20:21], v[52:53]
	v_pk_add_f32 v[28:29], v[40:41], v[28:29] neg_lo:[0,1] neg_hi:[0,1]
	v_pk_fma_f32 v[20:21], v[158:159], v[52:53], v[4:5] op_sel:[0,0,1] op_sel_hi:[1,1,0]
	v_pk_fma_f32 v[4:5], v[158:159], v[52:53], v[4:5] op_sel:[0,0,1] op_sel_hi:[1,1,0] neg_lo:[0,0,1] neg_hi:[0,0,1]
	v_pk_fma_f32 v[32:33], v[40:41], 2.0, v[28:29] op_sel_hi:[1,0,1] neg_lo:[0,0,1] neg_hi:[0,0,1]
	;; [unrolled: 6-line block ×6, first 2 shown]
	v_mov_b32_e32 v31, v5
	v_pk_add_f32 v[4:5], v[62:63], v[24:25] neg_lo:[0,1] neg_hi:[0,1]
	v_pk_add_f32 v[30:31], v[14:15], v[30:31] neg_lo:[0,1] neg_hi:[0,1]
	v_pk_add_f32 v[36:37], v[4:5], v[22:23] op_sel:[0,1] op_sel_hi:[1,0]
	v_pk_add_f32 v[22:23], v[4:5], v[22:23] op_sel:[0,1] op_sel_hi:[1,0] neg_lo:[0,1] neg_hi:[0,1]
	v_pk_fma_f32 v[14:15], v[14:15], 2.0, v[30:31] op_sel_hi:[1,0,1] neg_lo:[0,0,1] neg_hi:[0,0,1]
	v_mov_b32_e32 v37, v23
	v_pk_add_f32 v[22:23], v[28:29], v[18:19] op_sel:[0,1] op_sel_hi:[1,0]
	v_pk_add_f32 v[18:19], v[28:29], v[18:19] op_sel:[0,1] op_sel_hi:[1,0] neg_lo:[0,1] neg_hi:[0,1]
	v_pk_fma_f32 v[24:25], v[62:63], 2.0, v[4:5] op_sel_hi:[1,0,1] neg_lo:[0,0,1] neg_hi:[0,0,1]
	v_mov_b32_e32 v23, v19
	v_pk_fma_f32 v[18:19], v[28:29], 2.0, v[22:23] op_sel_hi:[1,0,1] neg_lo:[0,0,1] neg_hi:[0,0,1]
	v_pk_add_f32 v[28:29], v[26:27], v[16:17] op_sel:[0,1] op_sel_hi:[1,0]
	v_pk_add_f32 v[16:17], v[26:27], v[16:17] op_sel:[0,1] op_sel_hi:[1,0] neg_lo:[0,1] neg_hi:[0,1]
	v_pk_fma_f32 v[4:5], v[4:5], 2.0, v[36:37] op_sel_hi:[1,0,1] neg_lo:[0,0,1] neg_hi:[0,0,1]
	v_mov_b32_e32 v29, v17
	v_pk_fma_f32 v[16:17], v[26:27], 2.0, v[28:29] op_sel_hi:[1,0,1] neg_lo:[0,0,1] neg_hi:[0,0,1]
	v_pk_add_f32 v[26:27], v[20:21], v[30:31] op_sel:[0,1] op_sel_hi:[1,0]
	v_pk_add_f32 v[30:31], v[20:21], v[30:31] op_sel:[0,1] op_sel_hi:[1,0] neg_lo:[0,1] neg_hi:[0,1]
	v_pk_add_f32 v[8:9], v[24:25], v[8:9] neg_lo:[0,1] neg_hi:[0,1]
	v_mov_b32_e32 v27, v31
	v_pk_fma_f32 v[20:21], v[20:21], 2.0, v[26:27] op_sel_hi:[1,0,1] neg_lo:[0,0,1] neg_hi:[0,0,1]
	v_pk_mul_f32 v[30:31], v[18:19], s[0:1] op_sel_hi:[1,0]
	v_pk_fma_f32 v[18:19], v[18:19], s[0:1], v[4:5] op_sel_hi:[1,0,1] neg_lo:[1,0,0] neg_hi:[1,0,0]
	v_pk_add_f32 v[12:13], v[32:33], v[12:13] neg_lo:[0,1] neg_hi:[0,1]
	v_pk_add_f32 v[38:39], v[18:19], v[30:31] op_sel:[0,1] op_sel_hi:[1,0]
	v_pk_add_f32 v[18:19], v[18:19], v[30:31] op_sel:[0,1] op_sel_hi:[1,0] neg_lo:[0,1] neg_hi:[0,1]
	v_pk_mul_f32 v[30:31], v[20:21], s[0:1] op_sel_hi:[1,0]
	v_pk_fma_f32 v[20:21], v[20:21], s[0:1], v[16:17] op_sel_hi:[1,0,1] neg_lo:[1,0,0] neg_hi:[1,0,0]
	v_pk_add_f32 v[10:11], v[34:35], v[10:11] neg_lo:[0,1] neg_hi:[0,1]
	v_pk_add_f32 v[40:41], v[20:21], v[30:31] op_sel:[0,1] op_sel_hi:[1,0]
	v_pk_add_f32 v[20:21], v[20:21], v[30:31] op_sel:[0,1] op_sel_hi:[1,0] neg_lo:[0,1] neg_hi:[0,1]
	v_pk_add_f32 v[14:15], v[6:7], v[14:15] neg_lo:[0,1] neg_hi:[0,1]
	v_mov_b32_e32 v39, v19
	v_mov_b32_e32 v41, v21
	v_pk_fma_f32 v[24:25], v[24:25], 2.0, v[8:9] op_sel_hi:[1,0,1] neg_lo:[0,0,1] neg_hi:[0,0,1]
	v_pk_fma_f32 v[32:33], v[32:33], 2.0, v[12:13] op_sel_hi:[1,0,1] neg_lo:[0,0,1] neg_hi:[0,0,1]
	;; [unrolled: 1-line block ×6, first 2 shown]
	v_pk_add_f32 v[32:33], v[24:25], v[32:33] neg_lo:[0,1] neg_hi:[0,1]
	v_pk_add_f32 v[6:7], v[34:35], v[6:7] neg_lo:[0,1] neg_hi:[0,1]
	v_pk_fma_f32 v[30:31], v[16:17], s[2:3], v[4:5] op_sel_hi:[1,0,1] neg_lo:[1,0,0] neg_hi:[1,0,0]
	v_pk_mul_f32 v[16:17], v[16:17], s[6:7] op_sel_hi:[1,0]
	v_pk_fma_f32 v[24:25], v[24:25], 2.0, v[32:33] op_sel_hi:[1,0,1] neg_lo:[0,0,1] neg_hi:[0,0,1]
	v_pk_fma_f32 v[34:35], v[34:35], 2.0, v[6:7] op_sel_hi:[1,0,1] neg_lo:[0,0,1] neg_hi:[0,0,1]
	v_pk_add_f32 v[42:43], v[30:31], v[16:17] op_sel:[0,1] op_sel_hi:[1,0]
	v_pk_add_f32 v[16:17], v[30:31], v[16:17] op_sel:[0,1] op_sel_hi:[1,0] neg_lo:[0,1] neg_hi:[0,1]
	v_pk_add_f32 v[34:35], v[24:25], v[34:35] neg_lo:[0,1] neg_hi:[0,1]
	v_mov_b32_e32 v43, v17
	v_pk_fma_f32 v[24:25], v[24:25], 2.0, v[34:35] op_sel_hi:[1,0,1] neg_lo:[0,0,1] neg_hi:[0,0,1]
	v_pk_fma_f32 v[4:5], v[4:5], 2.0, v[42:43] op_sel_hi:[1,0,1] neg_lo:[0,0,1] neg_hi:[0,0,1]
	ds_write2_b64 v91, v[24:25], v[4:5] offset1:60
	v_pk_add_f32 v[4:5], v[8:9], v[12:13] op_sel:[0,1] op_sel_hi:[1,0]
	v_pk_add_f32 v[12:13], v[8:9], v[12:13] op_sel:[0,1] op_sel_hi:[1,0] neg_lo:[0,1] neg_hi:[0,1]
	v_fmamk_f32 v16, v40, 0x3ec3ef15, v38
	v_mov_b32_e32 v5, v13
	v_pk_add_f32 v[12:13], v[10:11], v[14:15] op_sel:[0,1] op_sel_hi:[1,0]
	v_pk_add_f32 v[14:15], v[10:11], v[14:15] op_sel:[0,1] op_sel_hi:[1,0] neg_lo:[0,1] neg_hi:[0,1]
	v_pk_fma_f32 v[8:9], v[8:9], 2.0, v[4:5] op_sel_hi:[1,0,1] neg_lo:[0,0,1] neg_hi:[0,0,1]
	v_mov_b32_e32 v13, v15
	v_pk_fma_f32 v[10:11], v[10:11], 2.0, v[12:13] op_sel_hi:[1,0,1] neg_lo:[0,0,1] neg_hi:[0,0,1]
	v_fmamk_f32 v17, v21, 0x3ec3ef15, v19
	v_pk_mul_f32 v[14:15], v[10:11], s[0:1] op_sel_hi:[1,0]
	v_pk_fma_f32 v[10:11], v[10:11], s[0:1], v[8:9] op_sel_hi:[1,0,1] neg_lo:[1,0,0] neg_hi:[1,0,0]
	v_fmac_f32_e32 v16, 0x3f6c835e, v21
	v_pk_add_f32 v[20:21], v[10:11], v[14:15] op_sel:[0,1] op_sel_hi:[1,0]
	v_pk_add_f32 v[10:11], v[10:11], v[14:15] op_sel:[0,1] op_sel_hi:[1,0] neg_lo:[0,1] neg_hi:[0,1]
	v_pk_fma_f32 v[14:15], v[22:23], s[0:1], v[36:37] op_sel_hi:[1,0,1]
	v_mov_b32_e32 v21, v11
	v_pk_mul_f32 v[10:11], v[22:23], s[0:1] op_sel_hi:[1,0]
	v_pk_mul_f32 v[24:25], v[26:27], s[0:1] op_sel_hi:[1,0]
	v_pk_fma_f32 v[26:27], v[26:27], s[0:1], v[28:29] op_sel_hi:[1,0,1]
	v_pk_add_f32 v[22:23], v[14:15], v[10:11] op_sel:[0,1] op_sel_hi:[1,0]
	v_pk_add_f32 v[10:11], v[14:15], v[10:11] op_sel:[0,1] op_sel_hi:[1,0] neg_lo:[0,1] neg_hi:[0,1]
	v_pk_add_f32 v[30:31], v[26:27], v[24:25] op_sel:[0,1] op_sel_hi:[1,0]
	v_pk_add_f32 v[24:25], v[26:27], v[24:25] op_sel:[0,1] op_sel_hi:[1,0] neg_lo:[0,1] neg_hi:[0,1]
	v_mov_b32_e32 v23, v11
	v_mov_b32_e32 v31, v25
	v_pk_fma_f32 v[14:15], v[36:37], 2.0, v[22:23] op_sel_hi:[1,0,1] neg_lo:[0,0,1] neg_hi:[0,0,1]
	v_pk_fma_f32 v[26:27], v[28:29], 2.0, v[30:31] op_sel_hi:[1,0,1] neg_lo:[0,0,1] neg_hi:[0,0,1]
	;; [unrolled: 1-line block ×3, first 2 shown]
	v_pk_fma_f32 v[28:29], v[26:27], s[6:7], v[14:15] op_sel_hi:[1,0,1] neg_lo:[1,0,0] neg_hi:[1,0,0]
	v_pk_mul_f32 v[26:27], v[26:27], s[2:3] op_sel_hi:[1,0]
	v_fmamk_f32 v17, v40, 0xbf6c835e, v17
	v_pk_add_f32 v[36:37], v[28:29], v[26:27] op_sel:[0,1] op_sel_hi:[1,0]
	v_pk_add_f32 v[26:27], v[28:29], v[26:27] op_sel:[0,1] op_sel_hi:[1,0] neg_lo:[0,1] neg_hi:[0,1]
	v_fma_f32 v18, v38, 2.0, -v16
	v_mov_b32_e32 v37, v27
	v_pk_fma_f32 v[14:15], v[14:15], 2.0, v[36:37] op_sel_hi:[1,0,1] neg_lo:[0,0,1] neg_hi:[0,0,1]
	ds_write2_b64 v91, v[8:9], v[14:15] offset0:120 offset1:180
	v_pk_add_f32 v[8:9], v[32:33], v[6:7] op_sel:[0,1] op_sel_hi:[1,0]
	v_pk_add_f32 v[6:7], v[32:33], v[6:7] op_sel:[0,1] op_sel_hi:[1,0] neg_lo:[0,1] neg_hi:[0,1]
	v_fma_f32 v19, v19, 2.0, -v17
	v_mov_b32_e32 v9, v7
	v_pk_fma_f32 v[6:7], v[32:33], 2.0, v[8:9] op_sel_hi:[1,0,1] neg_lo:[0,0,1] neg_hi:[0,0,1]
	v_add_u32_e32 v14, 0x400, v91
	ds_write2_b64 v14, v[6:7], v[18:19] offset0:112 offset1:172
	v_pk_mul_f32 v[6:7], v[12:13], s[0:1] op_sel_hi:[1,0]
	v_pk_fma_f32 v[12:13], v[12:13], s[0:1], v[4:5] op_sel_hi:[1,0,1]
	v_fmamk_f32 v24, v30, 0x3f6c835e, v22
	v_fmamk_f32 v10, v25, 0x3f6c835e, v11
	v_pk_add_f32 v[14:15], v[12:13], v[6:7] op_sel:[0,1] op_sel_hi:[1,0]
	v_pk_add_f32 v[6:7], v[12:13], v[6:7] op_sel:[0,1] op_sel_hi:[1,0] neg_lo:[0,1] neg_hi:[0,1]
	v_fmac_f32_e32 v24, 0x3ec3ef15, v25
	v_fmamk_f32 v25, v30, 0xbec3ef15, v10
	v_mov_b32_e32 v15, v7
	v_fma_f32 v10, v22, 2.0, -v24
	v_fma_f32 v11, v11, 2.0, -v25
	v_pk_fma_f32 v[4:5], v[4:5], 2.0, v[14:15] op_sel_hi:[1,0,1] neg_lo:[0,0,1] neg_hi:[0,0,1]
	v_add_u32_e32 v6, 0x800, v91
	ds_write2_b64 v6, v[4:5], v[10:11] offset0:104 offset1:164
	v_add_u32_e32 v4, 0xc00, v91
	ds_write2_b64 v4, v[34:35], v[42:43] offset0:96 offset1:156
	;; [unrolled: 2-line block ×5, first 2 shown]
	s_waitcnt lgkmcnt(0)
	s_barrier
	ds_read2_b64 v[4:7], v70 offset0:72 offset1:192
	v_mov_b32_e32 v8, v3
	ds_read_b64 v[12:13], v208
	v_mad_u64_u32 v[8:9], s[0:1], s11, v112, v[8:9]
	v_mov_b32_e32 v3, v8
	s_waitcnt lgkmcnt(1)
	v_pk_mul_f32 v[8:9], v[136:137], v[6:7]
	s_mov_b32 s0, 0x11111111
	v_pk_fma_f32 v[10:11], v[148:149], v[6:7], v[8:9] op_sel:[0,0,1] op_sel_hi:[1,1,0]
	v_pk_fma_f32 v[6:7], v[148:149], v[6:7], v[8:9] op_sel:[0,0,1] op_sel_hi:[1,1,0] neg_lo:[0,0,1] neg_hi:[0,0,1]
	s_mov_b32 s1, 0x3f411111
	v_mov_b32_e32 v11, v7
	ds_read2_b64 v[6:9], v71 offset0:56 offset1:176
	ds_read_b64 v[22:23], v207 offset:14400
	s_waitcnt lgkmcnt(2)
	v_pk_add_f32 v[24:25], v[12:13], v[10:11] neg_lo:[0,1] neg_hi:[0,1]
	s_mul_i32 s11, s9, 0xc00
	v_pk_fma_f32 v[26:27], v[12:13], 2.0, v[24:25] op_sel_hi:[1,0,1] neg_lo:[0,0,1] neg_hi:[0,0,1]
	ds_read2_b64 v[10:13], v207 offset0:120 offset1:240
	s_waitcnt lgkmcnt(2)
	v_pk_mul_f32 v[14:15], v[134:135], v[6:7]
	s_movk_i32 s7, 0x2000
	v_pk_fma_f32 v[16:17], v[146:147], v[6:7], v[14:15] op_sel:[0,0,1] op_sel_hi:[1,1,0]
	v_pk_fma_f32 v[6:7], v[146:147], v[6:7], v[14:15] op_sel:[0,0,1] op_sel_hi:[1,1,0] neg_lo:[0,0,1] neg_hi:[0,0,1]
	s_movk_i32 s6, 0x3000
	v_mov_b32_e32 v17, v7
	s_waitcnt lgkmcnt(0)
	v_pk_add_f32 v[28:29], v[10:11], v[16:17] neg_lo:[0,1] neg_hi:[0,1]
	v_pk_mul_f32 v[6:7], v[132:133], v[8:9]
	v_pk_fma_f32 v[30:31], v[10:11], 2.0, v[28:29] op_sel_hi:[1,0,1] neg_lo:[0,0,1] neg_hi:[0,0,1]
	v_pk_fma_f32 v[10:11], v[144:145], v[8:9], v[6:7] op_sel:[0,0,1] op_sel_hi:[1,1,0]
	v_pk_fma_f32 v[14:15], v[144:145], v[8:9], v[6:7] op_sel:[0,0,1] op_sel_hi:[1,1,0] neg_lo:[0,0,1] neg_hi:[0,0,1]
	ds_read2_b64 v[6:9], v72 offset0:40 offset1:160
	v_mov_b32_e32 v11, v15
	v_pk_add_f32 v[32:33], v[12:13], v[10:11] neg_lo:[0,1] neg_hi:[0,1]
	s_waitcnt lgkmcnt(0)
	v_pk_mul_f32 v[14:15], v[130:131], v[8:9]
	v_pk_fma_f32 v[34:35], v[12:13], 2.0, v[32:33] op_sel_hi:[1,0,1] neg_lo:[0,0,1] neg_hi:[0,0,1]
	ds_read2_b64 v[10:13], v68 offset0:104 offset1:224
	v_pk_fma_f32 v[18:19], v[142:143], v[8:9], v[14:15] op_sel:[0,0,1] op_sel_hi:[1,1,0]
	v_pk_fma_f32 v[8:9], v[142:143], v[8:9], v[14:15] op_sel:[0,0,1] op_sel_hi:[1,1,0] neg_lo:[0,0,1] neg_hi:[0,0,1]
	ds_read2_b64 v[14:17], v73 offset0:24 offset1:144
	v_mov_b32_e32 v19, v9
	s_waitcnt lgkmcnt(1)
	v_pk_add_f32 v[8:9], v[12:13], v[18:19] neg_lo:[0,1] neg_hi:[0,1]
	ds_read2_b64 v[18:21], v69 offset0:88 offset1:208
	v_pk_fma_f32 v[12:13], v[12:13], 2.0, v[8:9] op_sel_hi:[1,0,1] neg_lo:[0,0,1] neg_hi:[0,0,1]
	s_waitcnt lgkmcnt(1)
	v_pk_mul_f32 v[36:37], v[128:129], v[16:17]
	ds_write_b64 v208, v[26:27]
	ds_write2_b64 v207, v[30:31], v[34:35] offset0:120 offset1:240
	ds_write2_b64 v71, v[28:29], v[32:33] offset0:56 offset1:176
	v_pk_fma_f32 v[38:39], v[138:139], v[16:17], v[36:37] op_sel:[0,0,1] op_sel_hi:[1,1,0]
	v_pk_fma_f32 v[16:17], v[138:139], v[16:17], v[36:37] op_sel:[0,0,1] op_sel_hi:[1,1,0] neg_lo:[0,0,1] neg_hi:[0,0,1]
	v_pk_mul_f32 v[36:37], v[124:125], v[22:23]
	v_mov_b32_e32 v39, v17
	s_waitcnt lgkmcnt(3)
	v_pk_add_f32 v[16:17], v[20:21], v[38:39] neg_lo:[0,1] neg_hi:[0,1]
	v_pk_fma_f32 v[38:39], v[86:87], v[22:23], v[36:37] op_sel:[0,0,1] op_sel_hi:[1,1,0]
	v_pk_fma_f32 v[22:23], v[86:87], v[22:23], v[36:37] op_sel:[0,0,1] op_sel_hi:[1,1,0] neg_lo:[0,0,1] neg_hi:[0,0,1]
	v_pk_mul_f32 v[36:37], v[126:127], v[6:7]
	v_mov_b32_e32 v39, v23
	v_pk_add_f32 v[22:23], v[4:5], v[38:39] neg_lo:[0,1] neg_hi:[0,1]
	v_pk_fma_f32 v[38:39], v[140:141], v[6:7], v[36:37] op_sel:[0,0,1] op_sel_hi:[1,1,0]
	v_pk_fma_f32 v[6:7], v[140:141], v[6:7], v[36:37] op_sel:[0,0,1] op_sel_hi:[1,1,0] neg_lo:[0,0,1] neg_hi:[0,0,1]
	v_pk_mul_f32 v[36:37], v[122:123], v[14:15]
	v_mov_b32_e32 v39, v7
	v_pk_add_f32 v[6:7], v[10:11], v[38:39] neg_lo:[0,1] neg_hi:[0,1]
	v_pk_fma_f32 v[38:39], v[56:57], v[14:15], v[36:37] op_sel:[0,0,1] op_sel_hi:[1,1,0]
	v_pk_fma_f32 v[14:15], v[56:57], v[14:15], v[36:37] op_sel:[0,0,1] op_sel_hi:[1,1,0] neg_lo:[0,0,1] neg_hi:[0,0,1]
	v_pk_fma_f32 v[10:11], v[10:11], 2.0, v[6:7] op_sel_hi:[1,0,1] neg_lo:[0,0,1] neg_hi:[0,0,1]
	v_mov_b32_e32 v39, v15
	v_pk_fma_f32 v[4:5], v[4:5], 2.0, v[22:23] op_sel_hi:[1,0,1] neg_lo:[0,0,1] neg_hi:[0,0,1]
	v_pk_add_f32 v[14:15], v[18:19], v[38:39] neg_lo:[0,1] neg_hi:[0,1]
	ds_write2_b64 v68, v[10:11], v[12:13] offset0:104 offset1:224
	ds_write_b64 v215, v[8:9] offset:7680
	v_add_u32_e32 v10, 0x2900, v207
	v_pk_fma_f32 v[20:21], v[20:21], 2.0, v[16:17] op_sel_hi:[1,0,1] neg_lo:[0,0,1] neg_hi:[0,0,1]
	v_pk_fma_f32 v[8:9], v[18:19], 2.0, v[14:15] op_sel_hi:[1,0,1] neg_lo:[0,0,1] neg_hi:[0,0,1]
	ds_write2_b64 v10, v[6:7], v[14:15] offset0:8 offset1:248
	ds_write2_b64 v69, v[8:9], v[20:21] offset0:88 offset1:208
	ds_write_b64 v214, v[16:17] offset:7680
	ds_write2_b64 v70, v[4:5], v[24:25] offset0:72 offset1:192
	ds_write_b64 v213, v[22:23] offset:7680
	s_waitcnt lgkmcnt(0)
	s_barrier
	ds_read_b64 v[4:5], v208
	ds_read_b64 v[8:9], v207 offset:13824
	v_mad_u64_u32 v[12:13], s[2:3], s8, v90, 0
	v_mov_b32_e32 v16, 0xc00
	s_waitcnt lgkmcnt(1)
	v_mul_f32_e32 v6, v109, v5
	v_fmac_f32_e32 v6, v108, v4
	v_mul_f32_e32 v4, v109, v4
	v_fma_f32 v4, v108, v5, -v4
	v_cvt_f64_f32_e32 v[4:5], v4
	v_cvt_f64_f32_e32 v[6:7], v6
	v_mul_f64 v[4:5], v[4:5], s[0:1]
	v_mul_f64 v[6:7], v[6:7], s[0:1]
	v_cvt_f32_f64_e32 v11, v[4:5]
	v_mov_b32_e32 v4, v13
	v_cvt_f32_f64_e32 v10, v[6:7]
	v_mad_u64_u32 v[14:15], s[2:3], s9, v90, v[4:5]
	ds_read2st64_b64 v[4:7], v207 offset0:3 offset1:6
	v_mov_b32_e32 v13, v14
	v_lshl_add_u64 v[14:15], v[2:3], 3, v[0:1]
	s_mul_i32 s2, s9, 0xc0
	s_mul_hi_u32 s3, s8, 0xc0
	s_waitcnt lgkmcnt(0)
	v_mul_f32_e32 v2, v99, v5
	v_fmac_f32_e32 v2, v98, v4
	v_cvt_f64_f32_e32 v[2:3], v2
	v_mul_f64 v[2:3], v[2:3], s[0:1]
	v_cvt_f32_f64_e32 v2, v[2:3]
	v_mul_f32_e32 v3, v99, v4
	v_fma_f32 v3, v98, v5, -v3
	v_cvt_f64_f32_e32 v[4:5], v3
	v_lshl_add_u64 v[0:1], v[12:13], 3, v[14:15]
	v_mul_f64 v[4:5], v[4:5], s[0:1]
	s_add_i32 s3, s3, s2
	s_mul_i32 s2, s8, 0xc0
	global_store_dwordx2 v[0:1], v[10:11], off
	v_cvt_f32_f64_e32 v3, v[4:5]
	v_lshl_add_u64 v[4:5], s[2:3], 3, v[0:1]
	v_mul_f32_e32 v0, v93, v7
	v_fmac_f32_e32 v0, v92, v6
	v_cvt_f64_f32_e32 v[0:1], v0
	v_mul_f64 v[0:1], v[0:1], s[0:1]
	v_cvt_f32_f64_e32 v10, v[0:1]
	v_mul_f32_e32 v0, v93, v6
	v_fma_f32 v0, v92, v7, -v0
	v_cvt_f64_f32_e32 v[0:1], v0
	v_mul_f64 v[0:1], v[0:1], s[0:1]
	global_store_dwordx2 v[4:5], v[2:3], off
	v_cvt_f32_f64_e32 v11, v[0:1]
	v_mad_u64_u32 v[6:7], s[12:13], s8, v113, 0
	ds_read2st64_b64 v[0:3], v207 offset0:9 offset1:12
	v_mov_b32_e32 v12, v7
	v_mad_u64_u32 v[12:13], s[12:13], s9, v113, v[12:13]
	v_mov_b32_e32 v7, v12
	v_lshl_add_u64 v[6:7], v[6:7], 3, v[14:15]
	global_store_dwordx2 v[6:7], v[10:11], off
	s_waitcnt lgkmcnt(0)
	v_mul_f32_e32 v6, v111, v1
	v_fmac_f32_e32 v6, v110, v0
	v_mul_f32_e32 v0, v111, v0
	v_fma_f32 v0, v110, v1, -v0
	v_cvt_f64_f32_e32 v[6:7], v6
	v_cvt_f64_f32_e32 v[0:1], v0
	v_mul_f64 v[6:7], v[6:7], s[0:1]
	v_mul_f64 v[0:1], v[0:1], s[0:1]
	v_cvt_f32_f64_e32 v6, v[6:7]
	v_cvt_f32_f64_e32 v7, v[0:1]
	v_mul_f32_e32 v0, v97, v3
	v_fmac_f32_e32 v0, v96, v2
	v_mad_u64_u32 v[4:5], s[12:13], s8, v16, v[4:5]
	v_cvt_f64_f32_e32 v[0:1], v0
	v_add_u32_e32 v5, s11, v5
	v_mul_f64 v[0:1], v[0:1], s[0:1]
	global_store_dwordx2 v[4:5], v[6:7], off
	v_cvt_f32_f64_e32 v6, v[0:1]
	v_mul_f32_e32 v0, v97, v2
	v_fma_f32 v0, v96, v3, -v0
	v_cvt_f64_f32_e32 v[0:1], v0
	v_mul_f64 v[0:1], v[0:1], s[0:1]
	v_cvt_f32_f64_e32 v7, v[0:1]
	v_mad_u64_u32 v[10:11], s[12:13], s8, v204, 0
	ds_read2st64_b64 v[0:3], v207 offset0:15 offset1:18
	v_mov_b32_e32 v12, v11
	v_mad_u64_u32 v[12:13], s[12:13], s9, v204, v[12:13]
	v_mov_b32_e32 v11, v12
	v_lshl_add_u64 v[10:11], v[10:11], 3, v[14:15]
	global_store_dwordx2 v[10:11], v[6:7], off
	s_waitcnt lgkmcnt(0)
	v_mul_f32_e32 v6, v95, v1
	v_fmac_f32_e32 v6, v94, v0
	v_mul_f32_e32 v0, v95, v0
	v_fma_f32 v0, v94, v1, -v0
	v_cvt_f64_f32_e32 v[6:7], v6
	v_cvt_f64_f32_e32 v[0:1], v0
	v_mul_f64 v[6:7], v[6:7], s[0:1]
	v_mul_f64 v[0:1], v[0:1], s[0:1]
	v_cvt_f32_f64_e32 v6, v[6:7]
	v_cvt_f32_f64_e32 v7, v[0:1]
	v_mul_f32_e32 v0, v107, v3
	v_fmac_f32_e32 v0, v106, v2
	v_mad_u64_u32 v[4:5], s[12:13], s8, v16, v[4:5]
	v_cvt_f64_f32_e32 v[0:1], v0
	v_add_u32_e32 v5, s11, v5
	v_mul_f64 v[0:1], v[0:1], s[0:1]
	global_store_dwordx2 v[4:5], v[6:7], off
	v_cvt_f32_f64_e32 v6, v[0:1]
	v_mul_f32_e32 v0, v107, v2
	v_fma_f32 v0, v106, v3, -v0
	v_cvt_f64_f32_e32 v[0:1], v0
	v_mul_f64 v[0:1], v[0:1], s[0:1]
	v_cvt_f32_f64_e32 v7, v[0:1]
	v_mad_u64_u32 v[10:11], s[12:13], s8, v205, 0
	ds_read2st64_b64 v[0:3], v207 offset0:21 offset1:24
	v_mov_b32_e32 v12, v11
	v_mad_u64_u32 v[12:13], s[12:13], s9, v205, v[12:13]
	v_mov_b32_e32 v11, v12
	v_lshl_add_u64 v[10:11], v[10:11], 3, v[14:15]
	global_store_dwordx2 v[10:11], v[6:7], off
	s_waitcnt lgkmcnt(0)
	v_mul_f32_e32 v6, v101, v1
	v_fmac_f32_e32 v6, v100, v0
	v_mul_f32_e32 v0, v101, v0
	v_fma_f32 v0, v100, v1, -v0
	v_cvt_f64_f32_e32 v[6:7], v6
	v_cvt_f64_f32_e32 v[0:1], v0
	v_mul_f64 v[6:7], v[6:7], s[0:1]
	v_mul_f64 v[0:1], v[0:1], s[0:1]
	v_cvt_f32_f64_e32 v6, v[6:7]
	v_cvt_f32_f64_e32 v7, v[0:1]
	v_mad_u64_u32 v[0:1], s[12:13], s8, v16, v[4:5]
	v_mul_f32_e32 v4, v103, v3
	v_fmac_f32_e32 v4, v102, v2
	v_mul_f32_e32 v2, v103, v2
	v_fma_f32 v2, v102, v3, -v2
	v_cvt_f64_f32_e32 v[4:5], v4
	v_cvt_f64_f32_e32 v[2:3], v2
	v_mul_f64 v[4:5], v[4:5], s[0:1]
	v_mul_f64 v[2:3], v[2:3], s[0:1]
	v_add_u32_e32 v1, s11, v1
	v_cvt_f32_f64_e32 v4, v[4:5]
	v_cvt_f32_f64_e32 v5, v[2:3]
	v_mad_u64_u32 v[2:3], s[12:13], s8, v206, 0
	global_store_dwordx2 v[0:1], v[6:7], off
	v_mov_b32_e32 v6, v3
	v_mad_u64_u32 v[6:7], s[12:13], s9, v206, v[6:7]
	v_mov_b32_e32 v3, v6
	v_lshl_add_u64 v[2:3], v[2:3], 3, v[14:15]
	global_store_dwordx2 v[2:3], v[4:5], off
	v_mul_f32_e32 v2, v105, v9
	v_fmac_f32_e32 v2, v104, v8
	v_cvt_f64_f32_e32 v[2:3], v2
	v_mul_f64 v[2:3], v[2:3], s[0:1]
	v_cvt_f32_f64_e32 v2, v[2:3]
	v_mul_f32_e32 v3, v105, v8
	v_fma_f32 v3, v104, v9, -v3
	v_cvt_f64_f32_e32 v[4:5], v3
	v_mul_f64 v[4:5], v[4:5], s[0:1]
	v_mad_u64_u32 v[0:1], s[12:13], s8, v16, v[0:1]
	v_cvt_f32_f64_e32 v3, v[4:5]
	v_add_u32_e32 v1, s11, v1
	global_store_dwordx2 v[0:1], v[2:3], off
	s_and_b64 exec, exec, s[4:5]
	s_cbranch_execz .LBB0_23
; %bb.22:
	global_load_dwordx2 v[6:7], v[88:89], off offset:960
	v_add_u32_e32 v10, 0x1c0, v207
	ds_read2st64_b64 v[2:5], v10 offset0:1 offset1:4
	v_mov_b32_e32 v8, 0xffffcdc0
	v_mad_u64_u32 v[0:1], s[4:5], s8, v8, v[0:1]
	s_mulk_i32 s9, 0xcdc0
	s_sub_i32 s4, s9, s8
	v_add_u32_e32 v1, s4, v1
	s_lshl_b64 s[2:3], s[2:3], 3
	s_waitcnt vmcnt(0) lgkmcnt(0)
	v_mul_f32_e32 v8, v3, v7
	v_mul_f32_e32 v7, v2, v7
	v_fmac_f32_e32 v8, v2, v6
	v_fma_f32 v6, v6, v3, -v7
	v_cvt_f64_f32_e32 v[2:3], v8
	v_cvt_f64_f32_e32 v[6:7], v6
	v_mul_f64 v[2:3], v[2:3], s[0:1]
	v_mul_f64 v[6:7], v[6:7], s[0:1]
	v_cvt_f32_f64_e32 v2, v[2:3]
	v_cvt_f32_f64_e32 v3, v[6:7]
	global_store_dwordx2 v[0:1], v[2:3], off
	global_load_dwordx2 v[2:3], v[88:89], off offset:2496
	v_lshl_add_u64 v[6:7], v[0:1], 0, s[2:3]
	v_add_co_u32_e32 v8, vcc, s10, v88
	s_waitcnt vmcnt(0)
	v_mul_f32_e32 v0, v5, v3
	v_mul_f32_e32 v1, v4, v3
	v_fmac_f32_e32 v0, v4, v2
	v_fma_f32 v2, v2, v5, -v1
	v_cvt_f64_f32_e32 v[0:1], v0
	v_cvt_f64_f32_e32 v[2:3], v2
	v_mul_f64 v[0:1], v[0:1], s[0:1]
	v_mul_f64 v[2:3], v[2:3], s[0:1]
	v_cvt_f32_f64_e32 v0, v[0:1]
	v_cvt_f32_f64_e32 v1, v[2:3]
	global_store_dwordx2 v[6:7], v[0:1], off
	global_load_dwordx2 v[4:5], v[88:89], off offset:4032
	ds_read2st64_b64 v[0:3], v10 offset0:7 offset1:10
	v_lshl_add_u64 v[6:7], v[6:7], 0, s[2:3]
	v_addc_co_u32_e32 v9, vcc, 0, v89, vcc
	s_waitcnt vmcnt(0) lgkmcnt(0)
	v_mul_f32_e32 v11, v1, v5
	v_mul_f32_e32 v5, v0, v5
	v_fmac_f32_e32 v11, v0, v4
	v_fma_f32 v4, v4, v1, -v5
	v_cvt_f64_f32_e32 v[0:1], v11
	v_cvt_f64_f32_e32 v[4:5], v4
	v_mul_f64 v[0:1], v[0:1], s[0:1]
	v_mul_f64 v[4:5], v[4:5], s[0:1]
	v_cvt_f32_f64_e32 v0, v[0:1]
	v_cvt_f32_f64_e32 v1, v[4:5]
	global_store_dwordx2 v[6:7], v[0:1], off
	global_load_dwordx2 v[0:1], v[8:9], off offset:1472
	v_lshl_add_u64 v[4:5], v[6:7], 0, s[2:3]
	s_waitcnt vmcnt(0)
	v_mul_f32_e32 v6, v3, v1
	v_mul_f32_e32 v1, v2, v1
	v_fmac_f32_e32 v6, v2, v0
	v_fma_f32 v2, v0, v3, -v1
	v_cvt_f64_f32_e32 v[0:1], v6
	v_cvt_f64_f32_e32 v[2:3], v2
	v_mul_f64 v[0:1], v[0:1], s[0:1]
	v_mul_f64 v[2:3], v[2:3], s[0:1]
	v_cvt_f32_f64_e32 v0, v[0:1]
	v_cvt_f32_f64_e32 v1, v[2:3]
	global_store_dwordx2 v[4:5], v[0:1], off
	global_load_dwordx2 v[6:7], v[8:9], off offset:3008
	ds_read2st64_b64 v[0:3], v10 offset0:13 offset1:16
	v_add_co_u32_e32 v8, vcc, s7, v88
	v_lshl_add_u64 v[4:5], v[4:5], 0, s[2:3]
	s_nop 0
	v_addc_co_u32_e32 v9, vcc, 0, v89, vcc
	s_waitcnt vmcnt(0) lgkmcnt(0)
	v_mul_f32_e32 v11, v1, v7
	v_mul_f32_e32 v7, v0, v7
	v_fmac_f32_e32 v11, v0, v6
	v_fma_f32 v6, v6, v1, -v7
	v_cvt_f64_f32_e32 v[0:1], v11
	v_cvt_f64_f32_e32 v[6:7], v6
	v_mul_f64 v[0:1], v[0:1], s[0:1]
	v_mul_f64 v[6:7], v[6:7], s[0:1]
	v_cvt_f32_f64_e32 v0, v[0:1]
	v_cvt_f32_f64_e32 v1, v[6:7]
	global_store_dwordx2 v[4:5], v[0:1], off
	global_load_dwordx2 v[0:1], v[8:9], off offset:448
	v_lshl_add_u64 v[4:5], v[4:5], 0, s[2:3]
	s_waitcnt vmcnt(0)
	v_mul_f32_e32 v6, v3, v1
	v_mul_f32_e32 v1, v2, v1
	v_fmac_f32_e32 v6, v2, v0
	v_fma_f32 v2, v0, v3, -v1
	v_cvt_f64_f32_e32 v[0:1], v6
	v_cvt_f64_f32_e32 v[2:3], v2
	v_mul_f64 v[0:1], v[0:1], s[0:1]
	v_mul_f64 v[2:3], v[2:3], s[0:1]
	v_cvt_f32_f64_e32 v0, v[0:1]
	v_cvt_f32_f64_e32 v1, v[2:3]
	global_store_dwordx2 v[4:5], v[0:1], off
	global_load_dwordx2 v[6:7], v[8:9], off offset:1984
	ds_read2st64_b64 v[0:3], v10 offset0:19 offset1:22
	v_lshl_add_u64 v[4:5], v[4:5], 0, s[2:3]
	s_waitcnt vmcnt(0) lgkmcnt(0)
	v_mul_f32_e32 v11, v1, v7
	v_mul_f32_e32 v7, v0, v7
	v_fmac_f32_e32 v11, v0, v6
	v_fma_f32 v6, v6, v1, -v7
	v_cvt_f64_f32_e32 v[0:1], v11
	v_cvt_f64_f32_e32 v[6:7], v6
	v_mul_f64 v[0:1], v[0:1], s[0:1]
	v_mul_f64 v[6:7], v[6:7], s[0:1]
	v_cvt_f32_f64_e32 v0, v[0:1]
	v_cvt_f32_f64_e32 v1, v[6:7]
	global_store_dwordx2 v[4:5], v[0:1], off
	global_load_dwordx2 v[0:1], v[8:9], off offset:3520
	v_add_co_u32_e32 v6, vcc, s6, v88
	v_lshl_add_u64 v[4:5], v[4:5], 0, s[2:3]
	s_nop 0
	v_addc_co_u32_e32 v7, vcc, 0, v89, vcc
	s_waitcnt vmcnt(0)
	v_mul_f32_e32 v8, v3, v1
	v_mul_f32_e32 v1, v2, v1
	v_fmac_f32_e32 v8, v2, v0
	v_fma_f32 v2, v0, v3, -v1
	v_cvt_f64_f32_e32 v[0:1], v8
	v_cvt_f64_f32_e32 v[2:3], v2
	v_mul_f64 v[0:1], v[0:1], s[0:1]
	v_mul_f64 v[2:3], v[2:3], s[0:1]
	v_cvt_f32_f64_e32 v0, v[0:1]
	v_cvt_f32_f64_e32 v1, v[2:3]
	global_store_dwordx2 v[4:5], v[0:1], off
	global_load_dwordx2 v[8:9], v[6:7], off offset:960
	ds_read2st64_b64 v[0:3], v10 offset0:25 offset1:28
	v_lshl_add_u64 v[4:5], v[4:5], 0, s[2:3]
	s_waitcnt vmcnt(0) lgkmcnt(0)
	v_mul_f32_e32 v10, v1, v9
	v_mul_f32_e32 v9, v0, v9
	v_fmac_f32_e32 v10, v0, v8
	v_fma_f32 v8, v8, v1, -v9
	v_cvt_f64_f32_e32 v[0:1], v10
	v_cvt_f64_f32_e32 v[8:9], v8
	v_mul_f64 v[0:1], v[0:1], s[0:1]
	v_mul_f64 v[8:9], v[8:9], s[0:1]
	v_cvt_f32_f64_e32 v0, v[0:1]
	v_cvt_f32_f64_e32 v1, v[8:9]
	global_store_dwordx2 v[4:5], v[0:1], off
	global_load_dwordx2 v[0:1], v[6:7], off offset:2496
	s_waitcnt vmcnt(0)
	v_mul_f32_e32 v6, v3, v1
	v_mul_f32_e32 v1, v2, v1
	v_fmac_f32_e32 v6, v2, v0
	v_fma_f32 v2, v0, v3, -v1
	v_cvt_f64_f32_e32 v[0:1], v6
	v_cvt_f64_f32_e32 v[2:3], v2
	v_mul_f64 v[0:1], v[0:1], s[0:1]
	v_mul_f64 v[2:3], v[2:3], s[0:1]
	v_cvt_f32_f64_e32 v0, v[0:1]
	v_cvt_f32_f64_e32 v1, v[2:3]
	v_lshl_add_u64 v[2:3], v[4:5], 0, s[2:3]
	global_store_dwordx2 v[2:3], v[0:1], off
.LBB0_23:
	s_endpgm
	.section	.rodata,"a",@progbits
	.p2align	6, 0x0
	.amdhsa_kernel bluestein_single_fwd_len1920_dim1_sp_op_CI_CI
		.amdhsa_group_segment_fixed_size 30720
		.amdhsa_private_segment_fixed_size 0
		.amdhsa_kernarg_size 104
		.amdhsa_user_sgpr_count 2
		.amdhsa_user_sgpr_dispatch_ptr 0
		.amdhsa_user_sgpr_queue_ptr 0
		.amdhsa_user_sgpr_kernarg_segment_ptr 1
		.amdhsa_user_sgpr_dispatch_id 0
		.amdhsa_user_sgpr_kernarg_preload_length 0
		.amdhsa_user_sgpr_kernarg_preload_offset 0
		.amdhsa_user_sgpr_private_segment_size 0
		.amdhsa_uses_dynamic_stack 0
		.amdhsa_enable_private_segment 0
		.amdhsa_system_sgpr_workgroup_id_x 1
		.amdhsa_system_sgpr_workgroup_id_y 0
		.amdhsa_system_sgpr_workgroup_id_z 0
		.amdhsa_system_sgpr_workgroup_info 0
		.amdhsa_system_vgpr_workitem_id 0
		.amdhsa_next_free_vgpr 218
		.amdhsa_next_free_sgpr 26
		.amdhsa_accum_offset 220
		.amdhsa_reserve_vcc 1
		.amdhsa_float_round_mode_32 0
		.amdhsa_float_round_mode_16_64 0
		.amdhsa_float_denorm_mode_32 3
		.amdhsa_float_denorm_mode_16_64 3
		.amdhsa_dx10_clamp 1
		.amdhsa_ieee_mode 1
		.amdhsa_fp16_overflow 0
		.amdhsa_tg_split 0
		.amdhsa_exception_fp_ieee_invalid_op 0
		.amdhsa_exception_fp_denorm_src 0
		.amdhsa_exception_fp_ieee_div_zero 0
		.amdhsa_exception_fp_ieee_overflow 0
		.amdhsa_exception_fp_ieee_underflow 0
		.amdhsa_exception_fp_ieee_inexact 0
		.amdhsa_exception_int_div_zero 0
	.end_amdhsa_kernel
	.text
.Lfunc_end0:
	.size	bluestein_single_fwd_len1920_dim1_sp_op_CI_CI, .Lfunc_end0-bluestein_single_fwd_len1920_dim1_sp_op_CI_CI
                                        ; -- End function
	.section	.AMDGPU.csdata,"",@progbits
; Kernel info:
; codeLenInByte = 16436
; NumSgprs: 32
; NumVgprs: 218
; NumAgprs: 0
; TotalNumVgprs: 218
; ScratchSize: 0
; MemoryBound: 0
; FloatMode: 240
; IeeeMode: 1
; LDSByteSize: 30720 bytes/workgroup (compile time only)
; SGPRBlocks: 3
; VGPRBlocks: 27
; NumSGPRsForWavesPerEU: 32
; NumVGPRsForWavesPerEU: 218
; AccumOffset: 220
; Occupancy: 2
; WaveLimiterHint : 1
; COMPUTE_PGM_RSRC2:SCRATCH_EN: 0
; COMPUTE_PGM_RSRC2:USER_SGPR: 2
; COMPUTE_PGM_RSRC2:TRAP_HANDLER: 0
; COMPUTE_PGM_RSRC2:TGID_X_EN: 1
; COMPUTE_PGM_RSRC2:TGID_Y_EN: 0
; COMPUTE_PGM_RSRC2:TGID_Z_EN: 0
; COMPUTE_PGM_RSRC2:TIDIG_COMP_CNT: 0
; COMPUTE_PGM_RSRC3_GFX90A:ACCUM_OFFSET: 54
; COMPUTE_PGM_RSRC3_GFX90A:TG_SPLIT: 0
	.text
	.p2alignl 6, 3212836864
	.fill 256, 4, 3212836864
	.type	__hip_cuid_2a7e3828295497cb,@object ; @__hip_cuid_2a7e3828295497cb
	.section	.bss,"aw",@nobits
	.globl	__hip_cuid_2a7e3828295497cb
__hip_cuid_2a7e3828295497cb:
	.byte	0                               ; 0x0
	.size	__hip_cuid_2a7e3828295497cb, 1

	.ident	"AMD clang version 19.0.0git (https://github.com/RadeonOpenCompute/llvm-project roc-6.4.0 25133 c7fe45cf4b819c5991fe208aaa96edf142730f1d)"
	.section	".note.GNU-stack","",@progbits
	.addrsig
	.addrsig_sym __hip_cuid_2a7e3828295497cb
	.amdgpu_metadata
---
amdhsa.kernels:
  - .agpr_count:     0
    .args:
      - .actual_access:  read_only
        .address_space:  global
        .offset:         0
        .size:           8
        .value_kind:     global_buffer
      - .actual_access:  read_only
        .address_space:  global
        .offset:         8
        .size:           8
        .value_kind:     global_buffer
      - .actual_access:  read_only
        .address_space:  global
        .offset:         16
        .size:           8
        .value_kind:     global_buffer
      - .actual_access:  read_only
        .address_space:  global
        .offset:         24
        .size:           8
        .value_kind:     global_buffer
      - .actual_access:  read_only
        .address_space:  global
        .offset:         32
        .size:           8
        .value_kind:     global_buffer
      - .offset:         40
        .size:           8
        .value_kind:     by_value
      - .address_space:  global
        .offset:         48
        .size:           8
        .value_kind:     global_buffer
      - .address_space:  global
        .offset:         56
        .size:           8
        .value_kind:     global_buffer
      - .address_space:  global
        .offset:         64
        .size:           8
        .value_kind:     global_buffer
      - .address_space:  global
        .offset:         72
        .size:           8
        .value_kind:     global_buffer
      - .offset:         80
        .size:           4
        .value_kind:     by_value
      - .address_space:  global
        .offset:         88
        .size:           8
        .value_kind:     global_buffer
      - .address_space:  global
        .offset:         96
        .size:           8
        .value_kind:     global_buffer
    .group_segment_fixed_size: 30720
    .kernarg_segment_align: 8
    .kernarg_segment_size: 104
    .language:       OpenCL C
    .language_version:
      - 2
      - 0
    .max_flat_workgroup_size: 240
    .name:           bluestein_single_fwd_len1920_dim1_sp_op_CI_CI
    .private_segment_fixed_size: 0
    .sgpr_count:     32
    .sgpr_spill_count: 0
    .symbol:         bluestein_single_fwd_len1920_dim1_sp_op_CI_CI.kd
    .uniform_work_group_size: 1
    .uses_dynamic_stack: false
    .vgpr_count:     218
    .vgpr_spill_count: 0
    .wavefront_size: 64
amdhsa.target:   amdgcn-amd-amdhsa--gfx950
amdhsa.version:
  - 1
  - 2
...

	.end_amdgpu_metadata
